;; amdgpu-corpus repo=ROCm/rocFFT kind=compiled arch=gfx1030 opt=O3
	.text
	.amdgcn_target "amdgcn-amd-amdhsa--gfx1030"
	.amdhsa_code_object_version 6
	.protected	fft_rtc_back_len121_factors_11_11_wgs_121_tpt_11_dp_ip_CI_sbcc_twdbase5_3step_dirReg ; -- Begin function fft_rtc_back_len121_factors_11_11_wgs_121_tpt_11_dp_ip_CI_sbcc_twdbase5_3step_dirReg
	.globl	fft_rtc_back_len121_factors_11_11_wgs_121_tpt_11_dp_ip_CI_sbcc_twdbase5_3step_dirReg
	.p2align	8
	.type	fft_rtc_back_len121_factors_11_11_wgs_121_tpt_11_dp_ip_CI_sbcc_twdbase5_3step_dirReg,@function
fft_rtc_back_len121_factors_11_11_wgs_121_tpt_11_dp_ip_CI_sbcc_twdbase5_3step_dirReg: ; @fft_rtc_back_len121_factors_11_11_wgs_121_tpt_11_dp_ip_CI_sbcc_twdbase5_3step_dirReg
; %bb.0:
	s_load_dwordx8 s[8:15], s[4:5], 0x8
	s_mov_b32 s0, exec_lo
	v_cmpx_gt_u32_e32 0x60, v0
	s_cbranch_execz .LBB0_2
; %bb.1:
	v_lshlrev_b32_e32 v5, 4, v0
	s_waitcnt lgkmcnt(0)
	global_load_dwordx4 v[1:4], v5, s[8:9]
	v_add3_u32 v5, 0, v5, 0x5330
	s_waitcnt vmcnt(0)
	ds_write2_b64 v5, v[1:2], v[3:4] offset1:1
.LBB0_2:
	s_or_b32 exec_lo, exec_lo, s0
	s_waitcnt lgkmcnt(0)
	s_load_dwordx2 s[18:19], s[12:13], 0x8
	s_mov_b64 s[22:23], 0
	s_waitcnt lgkmcnt(0)
	s_add_u32 s0, s18, -1
	s_addc_u32 s1, s19, -1
	s_add_u32 s2, 0, 0x5d161400
	s_addc_u32 s3, 0, 0x54
	s_mul_hi_u32 s8, s2, -11
	s_add_i32 s3, s3, 0x1745d120
	s_sub_i32 s8, s8, s2
	s_mul_i32 s16, s3, -11
	s_mul_i32 s7, s2, -11
	s_add_i32 s8, s8, s16
	s_mul_hi_u32 s9, s2, s7
	s_mul_i32 s20, s2, s8
	s_mul_hi_u32 s16, s2, s8
	s_mul_hi_u32 s17, s3, s7
	s_mul_i32 s7, s3, s7
	s_add_u32 s9, s9, s20
	s_addc_u32 s16, 0, s16
	s_mul_hi_u32 s21, s3, s8
	s_add_u32 s7, s9, s7
	s_mul_i32 s8, s3, s8
	s_addc_u32 s7, s16, s17
	s_addc_u32 s9, s21, 0
	s_add_u32 s7, s7, s8
	v_add_co_u32 v1, s2, s2, s7
	s_addc_u32 s7, 0, s9
	s_cmp_lg_u32 s2, 0
	s_addc_u32 s2, s3, s7
	v_readfirstlane_b32 s3, v1
	s_mul_i32 s8, s0, s2
	s_mul_hi_u32 s7, s0, s2
	s_mul_hi_u32 s9, s1, s2
	s_mul_i32 s2, s1, s2
	s_mul_hi_u32 s16, s0, s3
	s_mul_hi_u32 s17, s1, s3
	s_mul_i32 s3, s1, s3
	s_add_u32 s8, s16, s8
	s_addc_u32 s7, 0, s7
	s_add_u32 s3, s8, s3
	s_addc_u32 s3, s7, s17
	s_addc_u32 s7, s9, 0
	s_add_u32 s2, s3, s2
	s_addc_u32 s3, 0, s7
	s_mul_i32 s8, s2, 11
	s_add_u32 s7, s2, 1
	v_sub_co_u32 v1, s0, s0, s8
	s_mul_hi_u32 s8, s2, 11
	s_addc_u32 s9, s3, 0
	s_mul_i32 s16, s3, 11
	v_sub_co_u32 v2, s17, v1, 11
	s_add_u32 s20, s2, 2
	s_addc_u32 s21, s3, 0
	s_add_i32 s8, s8, s16
	s_cmp_lg_u32 s0, 0
	v_readfirstlane_b32 s0, v2
	s_subb_u32 s1, s1, s8
	s_cmp_lg_u32 s17, 0
	s_subb_u32 s8, s1, 0
	s_cmp_gt_u32 s0, 10
	s_cselect_b32 s0, -1, 0
	s_cmp_eq_u32 s8, 0
	v_readfirstlane_b32 s8, v1
	s_cselect_b32 s0, s0, -1
	s_cmp_lg_u32 s0, 0
	s_cselect_b32 s0, s20, s7
	s_cselect_b32 s9, s21, s9
	s_cmp_gt_u32 s8, 10
	s_cselect_b32 s7, -1, 0
	s_cmp_eq_u32 s1, 0
	s_cselect_b32 s1, s7, -1
	s_mov_b32 s7, 0
	s_cmp_lg_u32 s1, 0
	s_cselect_b32 s0, s0, s2
	s_cselect_b32 s1, s9, s3
	s_add_u32 s20, s0, 1
	s_addc_u32 s21, s1, 0
	v_cmp_lt_u64_e64 s0, s[6:7], s[20:21]
	s_and_b32 vcc_lo, exec_lo, s0
	s_cbranch_vccnz .LBB0_4
; %bb.3:
	v_cvt_f32_u32_e32 v1, s20
	s_sub_i32 s1, 0, s20
	s_mov_b32 s23, s7
	v_rcp_iflag_f32_e32 v1, v1
	v_mul_f32_e32 v1, 0x4f7ffffe, v1
	v_cvt_u32_f32_e32 v1, v1
	v_readfirstlane_b32 s0, v1
	s_mul_i32 s1, s1, s0
	s_mul_hi_u32 s1, s0, s1
	s_add_i32 s0, s0, s1
	s_mul_hi_u32 s0, s6, s0
	s_mul_i32 s1, s0, s20
	s_add_i32 s2, s0, 1
	s_sub_i32 s1, s6, s1
	s_sub_i32 s3, s1, s20
	s_cmp_ge_u32 s1, s20
	s_cselect_b32 s0, s2, s0
	s_cselect_b32 s1, s3, s1
	s_add_i32 s2, s0, 1
	s_cmp_ge_u32 s1, s20
	s_cselect_b32 s22, s2, s0
.LBB0_4:
	s_load_dwordx4 s[0:3], s[14:15], 0x0
	s_clause 0x1
	s_load_dwordx2 s[8:9], s[4:5], 0x58
	s_load_dwordx2 s[16:17], s[4:5], 0x0
	s_mul_i32 s4, s22, s21
	s_mul_hi_u32 s5, s22, s20
	s_mul_i32 s24, s22, s20
	s_add_i32 s5, s5, s4
	s_sub_u32 s34, s6, s24
	s_subb_u32 s4, 0, s5
	s_mul_hi_u32 s33, s34, 11
	s_mul_i32 s4, s4, 11
	v_cmp_lt_u64_e64 s25, s[10:11], 3
	s_mul_i32 s34, s34, 11
	s_add_i32 s33, s33, s4
	s_and_b32 vcc_lo, exec_lo, s25
	s_waitcnt lgkmcnt(0)
	s_mul_i32 s4, s2, s33
	s_mul_hi_u32 s5, s2, s34
	s_mul_i32 s24, s3, s34
	s_add_i32 s4, s5, s4
	s_mul_i32 s35, s2, s34
	s_add_i32 s36, s4, s24
	s_cbranch_vccnz .LBB0_14
; %bb.5:
	s_add_u32 s4, s14, 16
	s_addc_u32 s5, s15, 0
	s_add_u32 s12, s12, 16
	s_addc_u32 s13, s13, 0
	s_mov_b64 s[24:25], 2
	s_mov_b32 s26, 0
.LBB0_6:                                ; =>This Inner Loop Header: Depth=1
	s_load_dwordx2 s[28:29], s[12:13], 0x0
	s_waitcnt lgkmcnt(0)
	s_or_b64 s[30:31], s[22:23], s[28:29]
	s_mov_b32 s27, s31
                                        ; implicit-def: $sgpr30_sgpr31
	s_cmp_lg_u64 s[26:27], 0
	s_mov_b32 s27, -1
	s_cbranch_scc0 .LBB0_8
; %bb.7:                                ;   in Loop: Header=BB0_6 Depth=1
	v_cvt_f32_u32_e32 v1, s28
	v_cvt_f32_u32_e32 v2, s29
	s_sub_u32 s31, 0, s28
	s_subb_u32 s37, 0, s29
	v_fmac_f32_e32 v1, 0x4f800000, v2
	v_rcp_f32_e32 v1, v1
	v_mul_f32_e32 v1, 0x5f7ffffc, v1
	v_mul_f32_e32 v2, 0x2f800000, v1
	v_trunc_f32_e32 v2, v2
	v_fmac_f32_e32 v1, 0xcf800000, v2
	v_cvt_u32_f32_e32 v2, v2
	v_cvt_u32_f32_e32 v1, v1
	v_readfirstlane_b32 s27, v2
	v_readfirstlane_b32 s30, v1
	s_mul_i32 s38, s31, s27
	s_mul_hi_u32 s40, s31, s30
	s_mul_i32 s39, s37, s30
	s_add_i32 s38, s40, s38
	s_mul_i32 s41, s31, s30
	s_add_i32 s38, s38, s39
	s_mul_hi_u32 s40, s30, s41
	s_mul_hi_u32 s42, s27, s41
	s_mul_i32 s39, s27, s41
	s_mul_hi_u32 s41, s30, s38
	s_mul_i32 s30, s30, s38
	s_mul_hi_u32 s43, s27, s38
	s_add_u32 s30, s40, s30
	s_addc_u32 s40, 0, s41
	s_add_u32 s30, s30, s39
	s_mul_i32 s38, s27, s38
	s_addc_u32 s30, s40, s42
	s_addc_u32 s39, s43, 0
	s_add_u32 s30, s30, s38
	s_addc_u32 s38, 0, s39
	v_add_co_u32 v1, s30, v1, s30
	s_cmp_lg_u32 s30, 0
	s_addc_u32 s27, s27, s38
	v_readfirstlane_b32 s30, v1
	s_mul_i32 s38, s31, s27
	s_mul_hi_u32 s39, s31, s30
	s_mul_i32 s37, s37, s30
	s_add_i32 s38, s39, s38
	s_mul_i32 s31, s31, s30
	s_add_i32 s38, s38, s37
	s_mul_hi_u32 s39, s27, s31
	s_mul_i32 s40, s27, s31
	s_mul_hi_u32 s31, s30, s31
	s_mul_hi_u32 s41, s30, s38
	s_mul_i32 s30, s30, s38
	s_mul_hi_u32 s37, s27, s38
	s_add_u32 s30, s31, s30
	s_addc_u32 s31, 0, s41
	s_add_u32 s30, s30, s40
	s_mul_i32 s38, s27, s38
	s_addc_u32 s30, s31, s39
	s_addc_u32 s31, s37, 0
	s_add_u32 s30, s30, s38
	s_addc_u32 s31, 0, s31
	v_add_co_u32 v1, s30, v1, s30
	s_cmp_lg_u32 s30, 0
	s_addc_u32 s27, s27, s31
	v_readfirstlane_b32 s30, v1
	s_mul_i32 s37, s22, s27
	s_mul_hi_u32 s31, s22, s27
	s_mul_hi_u32 s38, s23, s27
	s_mul_i32 s27, s23, s27
	s_mul_hi_u32 s39, s22, s30
	s_mul_hi_u32 s40, s23, s30
	s_mul_i32 s30, s23, s30
	s_add_u32 s37, s39, s37
	s_addc_u32 s31, 0, s31
	s_add_u32 s30, s37, s30
	s_addc_u32 s30, s31, s40
	s_addc_u32 s31, s38, 0
	s_add_u32 s30, s30, s27
	s_addc_u32 s31, 0, s31
	s_mul_hi_u32 s27, s28, s30
	s_mul_i32 s38, s28, s31
	s_mul_i32 s39, s28, s30
	s_add_i32 s27, s27, s38
	v_sub_co_u32 v1, s38, s22, s39
	s_mul_i32 s37, s29, s30
	s_add_i32 s27, s27, s37
	v_sub_co_u32 v2, s39, v1, s28
	s_sub_i32 s37, s23, s27
	s_cmp_lg_u32 s38, 0
	s_subb_u32 s37, s37, s29
	s_cmp_lg_u32 s39, 0
	v_readfirstlane_b32 s39, v2
	s_subb_u32 s37, s37, 0
	s_cmp_ge_u32 s37, s29
	s_cselect_b32 s40, -1, 0
	s_cmp_ge_u32 s39, s28
	s_cselect_b32 s39, -1, 0
	s_cmp_eq_u32 s37, s29
	s_cselect_b32 s37, s39, s40
	s_add_u32 s39, s30, 1
	s_addc_u32 s40, s31, 0
	s_add_u32 s41, s30, 2
	s_addc_u32 s42, s31, 0
	s_cmp_lg_u32 s37, 0
	s_cselect_b32 s37, s41, s39
	s_cselect_b32 s39, s42, s40
	s_cmp_lg_u32 s38, 0
	v_readfirstlane_b32 s38, v1
	s_subb_u32 s27, s23, s27
	s_cmp_ge_u32 s27, s29
	s_cselect_b32 s40, -1, 0
	s_cmp_ge_u32 s38, s28
	s_cselect_b32 s38, -1, 0
	s_cmp_eq_u32 s27, s29
	s_cselect_b32 s27, s38, s40
	s_cmp_lg_u32 s27, 0
	s_mov_b32 s27, 0
	s_cselect_b32 s31, s39, s31
	s_cselect_b32 s30, s37, s30
.LBB0_8:                                ;   in Loop: Header=BB0_6 Depth=1
	s_andn2_b32 vcc_lo, exec_lo, s27
	s_cbranch_vccnz .LBB0_10
; %bb.9:                                ;   in Loop: Header=BB0_6 Depth=1
	v_cvt_f32_u32_e32 v1, s28
	s_sub_i32 s30, 0, s28
	v_rcp_iflag_f32_e32 v1, v1
	v_mul_f32_e32 v1, 0x4f7ffffe, v1
	v_cvt_u32_f32_e32 v1, v1
	v_readfirstlane_b32 s27, v1
	s_mul_i32 s30, s30, s27
	s_mul_hi_u32 s30, s27, s30
	s_add_i32 s27, s27, s30
	s_mul_hi_u32 s27, s22, s27
	s_mul_i32 s30, s27, s28
	s_add_i32 s31, s27, 1
	s_sub_i32 s30, s22, s30
	s_sub_i32 s37, s30, s28
	s_cmp_ge_u32 s30, s28
	s_cselect_b32 s27, s31, s27
	s_cselect_b32 s30, s37, s30
	s_add_i32 s31, s27, 1
	s_cmp_ge_u32 s30, s28
	s_cselect_b32 s30, s31, s27
	s_mov_b32 s31, s26
.LBB0_10:                               ;   in Loop: Header=BB0_6 Depth=1
	s_load_dwordx2 s[38:39], s[4:5], 0x0
	s_mul_i32 s21, s28, s21
	s_mul_hi_u32 s27, s28, s20
	s_mul_i32 s37, s29, s20
	s_mul_i32 s29, s30, s29
	s_mul_hi_u32 s40, s30, s28
	s_mul_i32 s41, s31, s28
	s_add_i32 s21, s27, s21
	s_add_i32 s27, s40, s29
	s_mul_i32 s42, s30, s28
	s_add_i32 s21, s21, s37
	s_add_i32 s27, s27, s41
	s_sub_u32 s22, s22, s42
	s_subb_u32 s23, s23, s27
	s_mul_i32 s20, s28, s20
	s_waitcnt lgkmcnt(0)
	s_mul_i32 s23, s38, s23
	s_mul_hi_u32 s27, s38, s22
	s_add_i32 s23, s27, s23
	s_mul_i32 s27, s39, s22
	s_mul_i32 s22, s38, s22
	s_add_i32 s23, s23, s27
	s_add_u32 s35, s22, s35
	s_addc_u32 s36, s23, s36
	s_add_u32 s24, s24, 1
	s_addc_u32 s25, s25, 0
	s_add_u32 s4, s4, 8
	v_cmp_ge_u64_e64 s22, s[24:25], s[10:11]
	s_addc_u32 s5, s5, 0
	s_add_u32 s12, s12, 8
	s_addc_u32 s13, s13, 0
	s_and_b32 vcc_lo, exec_lo, s22
	s_cbranch_vccnz .LBB0_12
; %bb.11:                               ;   in Loop: Header=BB0_6 Depth=1
	s_mov_b64 s[22:23], s[30:31]
	s_branch .LBB0_6
.LBB0_12:
	v_cmp_lt_u64_e64 s4, s[6:7], s[20:21]
	s_mov_b64 s[22:23], 0
	s_and_b32 vcc_lo, exec_lo, s4
	s_cbranch_vccnz .LBB0_14
; %bb.13:
	v_cvt_f32_u32_e32 v1, s20
	s_sub_i32 s5, 0, s20
	v_rcp_iflag_f32_e32 v1, v1
	v_mul_f32_e32 v1, 0x4f7ffffe, v1
	v_cvt_u32_f32_e32 v1, v1
	v_readfirstlane_b32 s4, v1
	s_mul_i32 s5, s5, s4
	s_mul_hi_u32 s5, s4, s5
	s_add_i32 s4, s4, s5
	s_mul_hi_u32 s4, s6, s4
	s_mul_i32 s5, s4, s20
	s_sub_i32 s5, s6, s5
	s_add_i32 s6, s4, 1
	s_sub_i32 s7, s5, s20
	s_cmp_ge_u32 s5, s20
	s_cselect_b32 s4, s6, s4
	s_cselect_b32 s5, s7, s5
	s_add_i32 s6, s4, 1
	s_cmp_ge_u32 s5, s20
	s_cselect_b32 s22, s6, s4
.LBB0_14:
	s_lshl_b64 s[4:5], s[10:11], 3
	v_mul_hi_u32 v57, 0x1745d175, v0
	s_add_u32 s4, s14, s4
	s_addc_u32 s5, s15, s5
                                        ; implicit-def: $vgpr3_vgpr4
                                        ; implicit-def: $vgpr11_vgpr12
                                        ; implicit-def: $vgpr15_vgpr16
                                        ; implicit-def: $vgpr19_vgpr20
                                        ; implicit-def: $vgpr23_vgpr24
                                        ; implicit-def: $vgpr27_vgpr28
                                        ; implicit-def: $vgpr31_vgpr32
                                        ; implicit-def: $vgpr35_vgpr36
                                        ; implicit-def: $vgpr39_vgpr40
                                        ; implicit-def: $vgpr43_vgpr44
                                        ; implicit-def: $vgpr7_vgpr8
	s_load_dwordx2 s[4:5], s[4:5], 0x0
	v_mul_u32_u24_e32 v1, 11, v57
	v_sub_nc_u32_e32 v56, v0, v1
	v_add_co_u32 v45, s6, s34, v56
	v_add_co_ci_u32_e64 v46, null, s33, 0, s6
	s_waitcnt lgkmcnt(0)
	s_mul_i32 s5, s5, s22
	s_mul_hi_u32 s6, s4, s22
	s_mul_i32 s4, s4, s22
	s_add_i32 s6, s6, s5
	s_add_u32 s4, s4, s35
	s_addc_u32 s5, s6, s36
	s_add_u32 s6, s34, 11
	s_addc_u32 s7, s33, 0
	v_cmp_gt_u64_e32 vcc_lo, s[18:19], v[45:46]
	v_cmp_le_u64_e64 s6, s[6:7], s[18:19]
	s_or_b32 s33, s6, vcc_lo
	s_and_saveexec_b32 s6, s33
	s_cbranch_execz .LBB0_16
; %bb.15:
	v_mad_u64_u32 v[1:2], null, s2, v56, 0
	v_mad_u64_u32 v[3:4], null, s0, v57, 0
	v_add_nc_u32_e32 v11, 11, v57
	v_add_nc_u32_e32 v13, 22, v57
	s_lshl_b64 s[10:11], s[4:5], 4
	v_add_nc_u32_e32 v15, 33, v57
	s_add_u32 s7, s8, s10
	v_mad_u64_u32 v[5:6], null, s0, v11, 0
	v_mad_u64_u32 v[7:8], null, s3, v56, v[2:3]
	s_addc_u32 s10, s9, s11
	v_add_nc_u32_e32 v18, 44, v57
	v_add_nc_u32_e32 v19, 55, v57
	;; [unrolled: 1-line block ×3, first 2 shown]
	v_mad_u64_u32 v[8:9], null, s1, v57, v[4:5]
	v_mov_b32_e32 v4, v6
	v_mov_b32_e32 v2, v7
	v_mad_u64_u32 v[9:10], null, s0, v13, 0
	v_add_nc_u32_e32 v24, 0x63, v57
	v_mad_u64_u32 v[6:7], null, s1, v11, v[4:5]
	v_mov_b32_e32 v4, v8
	v_lshlrev_b64 v[1:2], 4, v[1:2]
	v_mad_u64_u32 v[11:12], null, s0, v15, 0
	v_mov_b32_e32 v7, v10
	v_lshlrev_b64 v[3:4], 4, v[3:4]
	v_add_nc_u32_e32 v46, 0x6e, v57
	v_add_co_u32 v22, vcc_lo, s7, v1
	v_add_co_ci_u32_e32 v23, vcc_lo, s10, v2, vcc_lo
	v_add_co_u32 v1, vcc_lo, v22, v3
	v_add_co_ci_u32_e32 v2, vcc_lo, v23, v4, vcc_lo
	v_lshlrev_b64 v[3:4], 4, v[5:6]
	v_mad_u64_u32 v[5:6], null, s1, v13, v[7:8]
	v_mov_b32_e32 v6, v12
	v_mad_u64_u32 v[13:14], null, s0, v18, 0
	v_add_co_u32 v3, vcc_lo, v22, v3
	v_add_co_ci_u32_e32 v4, vcc_lo, v23, v4, vcc_lo
	v_mov_b32_e32 v10, v5
	v_mad_u64_u32 v[15:16], null, s1, v15, v[6:7]
	s_clause 0x1
	global_load_dwordx4 v[5:8], v[1:2], off
	global_load_dwordx4 v[41:44], v[3:4], off
	v_mad_u64_u32 v[16:17], null, s0, v19, 0
	v_mov_b32_e32 v12, v14
	v_lshlrev_b64 v[1:2], 4, v[9:10]
	v_mad_u64_u32 v[3:4], null, s1, v18, v[12:13]
	v_mov_b32_e32 v4, v17
	v_mov_b32_e32 v12, v15
	v_add_co_u32 v1, vcc_lo, v22, v1
	v_add_co_ci_u32_e32 v2, vcc_lo, v23, v2, vcc_lo
	v_mov_b32_e32 v14, v3
	v_lshlrev_b64 v[9:10], 4, v[11:12]
	v_lshlrev_b64 v[11:12], 4, v[13:14]
	v_add_co_u32 v9, vcc_lo, v22, v9
	v_add_co_ci_u32_e32 v10, vcc_lo, v23, v10, vcc_lo
	s_clause 0x1
	global_load_dwordx4 v[37:40], v[1:2], off
	global_load_dwordx4 v[33:36], v[9:10], off
	v_add_co_u32 v1, vcc_lo, v22, v11
	v_add_co_ci_u32_e32 v2, vcc_lo, v23, v12, vcc_lo
	s_waitcnt vmcnt(3)
	v_mad_u64_u32 v[3:4], null, s1, v19, v[4:5]
	v_add_nc_u32_e32 v4, 0x42, v57
	v_add_nc_u32_e32 v19, 0x4d, v57
	v_mad_u64_u32 v[13:14], null, s0, v4, 0
	v_mov_b32_e32 v17, v3
	v_mad_u64_u32 v[11:12], null, s0, v19, 0
	v_lshlrev_b64 v[9:10], 4, v[16:17]
	v_mov_b32_e32 v3, v14
	v_mad_u64_u32 v[15:16], null, s0, v21, 0
	v_mad_u64_u32 v[17:18], null, s0, v24, 0
	;; [unrolled: 1-line block ×3, first 2 shown]
	v_add_co_u32 v9, vcc_lo, v22, v9
	v_mov_b32_e32 v4, v16
	v_add_co_ci_u32_e32 v10, vcc_lo, v23, v10, vcc_lo
	s_clause 0x1
	global_load_dwordx4 v[29:32], v[1:2], off
	global_load_dwordx4 v[25:28], v[9:10], off
	v_mov_b32_e32 v14, v3
	v_mov_b32_e32 v3, v12
	;; [unrolled: 1-line block ×3, first 2 shown]
	v_lshlrev_b64 v[9:10], 4, v[13:14]
	v_mad_u64_u32 v[19:20], null, s1, v19, v[3:4]
	v_mad_u64_u32 v[3:4], null, s1, v21, v[4:5]
	v_mad_u64_u32 v[20:21], null, s0, v46, 0
	v_mad_u64_u32 v[1:2], null, s1, v24, v[1:2]
	v_mov_b32_e32 v12, v19
	v_mov_b32_e32 v16, v3
	v_add_co_u32 v3, vcc_lo, v22, v9
	v_mov_b32_e32 v2, v21
	v_add_co_ci_u32_e32 v4, vcc_lo, v23, v10, vcc_lo
	v_lshlrev_b64 v[9:10], 4, v[11:12]
	v_mov_b32_e32 v18, v1
	v_mad_u64_u32 v[11:12], null, s1, v46, v[2:3]
	v_lshlrev_b64 v[12:13], 4, v[15:16]
	v_add_co_u32 v1, vcc_lo, v22, v9
	v_add_co_ci_u32_e32 v2, vcc_lo, v23, v10, vcc_lo
	v_mov_b32_e32 v21, v11
	v_lshlrev_b64 v[9:10], 4, v[17:18]
	v_add_co_u32 v11, vcc_lo, v22, v12
	v_add_co_ci_u32_e32 v12, vcc_lo, v23, v13, vcc_lo
	v_lshlrev_b64 v[13:14], 4, v[20:21]
	v_add_co_u32 v9, vcc_lo, v22, v9
	v_add_co_ci_u32_e32 v10, vcc_lo, v23, v10, vcc_lo
	v_add_co_u32 v46, vcc_lo, v22, v13
	v_add_co_ci_u32_e32 v47, vcc_lo, v23, v14, vcc_lo
	s_clause 0x4
	global_load_dwordx4 v[21:24], v[3:4], off
	global_load_dwordx4 v[17:20], v[1:2], off
	;; [unrolled: 1-line block ×5, first 2 shown]
.LBB0_16:
	s_or_b32 exec_lo, exec_lo, s6
	s_waitcnt vmcnt(9)
	v_add_f64 v[54:55], v[41:42], v[5:6]
	v_add_f64 v[58:59], v[43:44], v[7:8]
	s_waitcnt vmcnt(0)
	v_add_f64 v[60:61], v[41:42], -v[1:2]
	v_add_f64 v[48:49], v[13:14], v[33:34]
	v_add_f64 v[50:51], v[15:16], v[35:36]
	v_add_f64 v[70:71], v[33:34], -v[13:14]
	v_add_f64 v[72:73], v[35:36], -v[15:16]
	;; [unrolled: 1-line block ×3, first 2 shown]
	s_mov_b32 s10, 0xf8bb580b
	s_mov_b32 s11, 0xbfe14ced
	v_add_f64 v[52:53], v[1:2], v[41:42]
	v_add_f64 v[46:47], v[3:4], v[43:44]
	;; [unrolled: 1-line block ×4, first 2 shown]
	v_add_f64 v[64:65], v[37:38], -v[9:10]
	v_add_f64 v[66:67], v[39:40], -v[11:12]
	;; [unrolled: 1-line block ×4, first 2 shown]
	s_mov_b32 s14, 0x8eee2c13
	s_mov_b32 s24, 0x8764f0ba
	s_mov_b32 s15, 0xbfed1bb4
	s_mov_b32 s25, 0x3feaeb8c
	v_add_f64 v[68:69], v[37:38], v[54:55]
	v_add_f64 v[58:59], v[39:40], v[58:59]
	;; [unrolled: 1-line block ×4, first 2 shown]
	v_mul_f64 v[88:89], v[60:61], s[10:11]
	v_add_f64 v[78:79], v[21:22], v[25:26]
	v_add_f64 v[54:55], v[23:24], v[27:28]
	v_add_f64 v[80:81], v[25:26], -v[21:22]
	v_add_f64 v[82:83], v[27:28], -v[23:24]
	s_mov_b32 s6, 0x43842ef
	s_mov_b32 s12, 0xbb3a28a1
	;; [unrolled: 1-line block ×4, first 2 shown]
	v_mul_f64 v[90:91], v[60:61], s[14:15]
	s_mov_b32 s7, 0xbfefac9e
	v_mul_f64 v[96:97], v[66:67], s[14:15]
	s_mov_b32 s13, 0xbfe82f19
	s_mov_b32 s29, 0xbfd207e7
	;; [unrolled: 1-line block ×3, first 2 shown]
	v_mul_f64 v[84:85], v[62:63], s[6:7]
	v_mul_f64 v[86:87], v[62:63], s[12:13]
	;; [unrolled: 1-line block ×3, first 2 shown]
	v_add_f64 v[33:34], v[33:34], v[68:69]
	v_add_f64 v[35:36], v[35:36], v[58:59]
	v_mul_f64 v[58:59], v[62:63], s[10:11]
	v_mul_f64 v[68:69], v[62:63], s[14:15]
	;; [unrolled: 1-line block ×5, first 2 shown]
	s_mov_b32 s26, 0x640f44db
	s_mov_b32 s20, 0x7f775887
	s_mov_b32 s18, 0x9bcd5057
	v_mul_f64 v[110:111], v[64:65], s[12:13]
	s_mov_b32 s27, 0xbfc2375f
	s_mov_b32 s21, 0xbfe4f49e
	v_fma_f64 v[146:147], v[46:47], s[22:23], -v[90:91]
	s_mov_b32 s19, 0xbfeeb42a
	v_fma_f64 v[154:155], v[41:42], s[22:23], v[96:97]
	s_mov_b32 s37, 0x3fefac9e
	s_mov_b32 s36, s6
	v_mul_f64 v[60:61], v[60:61], s[28:29]
	v_mul_f64 v[102:103], v[74:75], s[12:13]
	;; [unrolled: 1-line block ×4, first 2 shown]
	v_add_f64 v[29:30], v[29:30], v[33:34]
	v_add_f64 v[31:32], v[31:32], v[35:36]
	v_mul_f64 v[33:34], v[64:65], s[14:15]
	v_fma_f64 v[132:133], v[52:53], s[24:25], v[58:59]
	v_mul_f64 v[35:36], v[72:73], s[6:7]
	v_fma_f64 v[144:145], v[52:53], s[22:23], v[68:69]
	v_fma_f64 v[58:59], v[52:53], s[24:25], -v[58:59]
	v_fma_f64 v[68:69], v[52:53], s[22:23], -v[68:69]
	v_fma_f64 v[148:149], v[52:53], s[26:27], v[84:85]
	v_fma_f64 v[84:85], v[52:53], s[26:27], -v[84:85]
	v_fma_f64 v[150:151], v[52:53], s[20:21], v[86:87]
	v_fma_f64 v[158:159], v[46:47], s[20:21], -v[94:95]
	v_fma_f64 v[162:163], v[50:51], s[26:27], -v[98:99]
	s_mov_b32 s39, 0x3fd207e7
	s_mov_b32 s38, s28
	v_mul_f64 v[108:109], v[66:67], s[12:13]
	v_mul_f64 v[126:127], v[64:65], s[38:39]
	v_fma_f64 v[152:153], v[46:47], s[26:27], -v[92:93]
	v_mul_f64 v[100:101], v[76:77], s[12:13]
	v_mul_f64 v[114:115], v[70:71], s[38:39]
	v_add_f64 v[146:147], v[7:8], v[146:147]
	v_mul_f64 v[140:141], v[72:73], s[10:11]
	v_add_f64 v[25:26], v[25:26], v[29:30]
	v_add_f64 v[27:28], v[27:28], v[31:32]
	v_fma_f64 v[29:30], v[46:47], s[24:25], -v[88:89]
	v_fma_f64 v[156:157], v[43:44], s[22:23], -v[33:34]
	v_add_f64 v[132:133], v[5:6], v[132:133]
	v_fma_f64 v[160:161], v[48:49], s[26:27], v[35:36]
	v_fma_f64 v[176:177], v[41:42], s[26:27], v[136:137]
	v_fma_f64 v[178:179], v[43:44], s[26:27], -v[138:139]
	s_mov_b32 s35, 0x3fed1bb4
	s_mov_b32 s34, s14
	;; [unrolled: 1-line block ×4, first 2 shown]
	v_mul_f64 v[124:125], v[66:67], s[38:39]
	v_mul_f64 v[112:113], v[72:73], s[38:39]
	;; [unrolled: 1-line block ×3, first 2 shown]
	v_add_f64 v[144:145], v[5:6], v[144:145]
	v_fma_f64 v[166:167], v[43:44], s[18:19], -v[126:127]
	v_add_f64 v[152:153], v[7:8], v[152:153]
	v_mul_f64 v[142:143], v[70:71], s[10:11]
	v_mul_f64 v[66:67], v[66:67], s[30:31]
	;; [unrolled: 1-line block ×3, first 2 shown]
	v_fma_f64 v[94:95], v[46:47], s[20:21], v[94:95]
	v_add_f64 v[21:22], v[21:22], v[25:26]
	v_add_f64 v[23:24], v[23:24], v[27:28]
	;; [unrolled: 1-line block ×3, first 2 shown]
	v_fma_f64 v[27:28], v[52:53], s[20:21], -v[86:87]
	v_fma_f64 v[29:30], v[52:53], s[18:19], v[62:63]
	v_fma_f64 v[52:53], v[52:53], s[18:19], -v[62:63]
	v_fma_f64 v[62:63], v[46:47], s[24:25], v[88:89]
	v_fma_f64 v[88:89], v[46:47], s[26:27], v[92:93]
	v_fma_f64 v[92:93], v[43:44], s[20:21], -v[110:111]
	v_add_f64 v[132:133], v[154:155], v[132:133]
	v_fma_f64 v[86:87], v[46:47], s[22:23], v[90:91]
	v_fma_f64 v[90:91], v[41:42], s[20:21], v[108:109]
	v_mul_f64 v[128:129], v[72:73], s[34:35]
	v_fma_f64 v[164:165], v[41:42], s[18:19], v[124:125]
	v_add_f64 v[148:149], v[5:6], v[148:149]
	v_fma_f64 v[154:155], v[48:49], s[18:19], v[112:113]
	v_fma_f64 v[136:137], v[41:42], s[26:27], -v[136:137]
	v_add_f64 v[152:153], v[166:167], v[152:153]
	v_fma_f64 v[138:139], v[43:44], s[26:27], v[138:139]
	v_mul_f64 v[72:73], v[72:73], s[12:13]
	v_mul_f64 v[70:71], v[70:71], s[12:13]
	v_add_f64 v[94:95], v[7:8], v[94:95]
	v_add_f64 v[17:18], v[17:18], v[21:22]
	v_add_f64 v[19:20], v[19:20], v[23:24]
	v_add_f64 v[21:22], v[156:157], v[25:26]
	v_fma_f64 v[23:24], v[46:47], s[18:19], -v[60:61]
	v_fma_f64 v[25:26], v[46:47], s[18:19], v[60:61]
	v_fma_f64 v[60:61], v[39:40], s[20:21], -v[102:103]
	v_fma_f64 v[46:47], v[37:38], s[20:21], v[100:101]
	v_fma_f64 v[156:157], v[50:51], s[18:19], -v[114:115]
	v_add_f64 v[92:93], v[92:93], v[146:147]
	v_add_f64 v[132:133], v[160:161], v[132:133]
	v_fma_f64 v[146:147], v[50:51], s[22:23], -v[130:131]
	v_add_f64 v[90:91], v[90:91], v[144:145]
	v_add_f64 v[27:28], v[5:6], v[27:28]
	;; [unrolled: 1-line block ×7, first 2 shown]
	v_fma_f64 v[33:34], v[43:44], s[22:23], v[33:34]
	v_mul_f64 v[116:117], v[76:77], s[36:37]
	v_mul_f64 v[118:119], v[74:75], s[36:37]
	;; [unrolled: 1-line block ×3, first 2 shown]
	v_add_f64 v[13:14], v[13:14], v[17:18]
	v_add_f64 v[15:16], v[15:16], v[19:20]
	;; [unrolled: 1-line block ×10, first 2 shown]
	v_fma_f64 v[132:133], v[50:51], s[24:25], -v[142:143]
	v_fma_f64 v[156:157], v[41:42], s[24:25], v[66:67]
	v_fma_f64 v[158:159], v[43:44], s[24:25], -v[64:65]
	v_add_f64 v[5:6], v[5:6], v[52:53]
	v_add_f64 v[7:8], v[7:8], v[25:26]
	v_fma_f64 v[66:67], v[41:42], s[24:25], -v[66:67]
	v_fma_f64 v[64:65], v[43:44], s[24:25], v[64:65]
	v_mul_f64 v[134:135], v[74:75], s[10:11]
	v_fma_f64 v[144:145], v[48:49], s[22:23], v[128:129]
	v_add_f64 v[148:149], v[164:165], v[148:149]
	v_add_f64 v[90:91], v[154:155], v[90:91]
	v_add_f64 v[52:53], v[146:147], v[152:153]
	v_add_f64 v[9:10], v[9:10], v[13:14]
	v_mul_f64 v[152:153], v[76:77], s[28:29]
	v_add_f64 v[13:14], v[60:61], v[17:18]
	v_mul_f64 v[154:155], v[74:75], s[28:29]
	v_add_f64 v[27:28], v[136:137], v[27:28]
	v_add_f64 v[58:59], v[176:177], v[58:59]
	;; [unrolled: 1-line block ×3, first 2 shown]
	v_fma_f64 v[62:63], v[48:49], s[24:25], v[140:141]
	v_add_f64 v[94:95], v[138:139], v[94:95]
	v_fma_f64 v[136:137], v[48:49], s[20:21], v[72:73]
	v_fma_f64 v[138:139], v[50:51], s[20:21], -v[70:71]
	v_add_f64 v[29:30], v[156:157], v[29:30]
	v_add_f64 v[23:24], v[158:159], v[23:24]
	v_mul_f64 v[76:77], v[76:77], s[34:35]
	v_mul_f64 v[74:75], v[74:75], s[34:35]
	v_add_f64 v[5:6], v[66:67], v[5:6]
	v_add_f64 v[7:8], v[64:65], v[7:8]
	v_fma_f64 v[64:65], v[48:49], s[20:21], -v[72:73]
	v_fma_f64 v[66:67], v[50:51], s[20:21], v[70:71]
	v_add_f64 v[21:22], v[33:34], v[21:22]
	v_fma_f64 v[35:36], v[48:49], s[26:27], -v[35:36]
	v_fma_f64 v[70:71], v[48:49], s[18:19], -v[112:113]
	v_fma_f64 v[72:73], v[50:51], s[18:19], v[114:115]
	v_mul_f64 v[104:105], v[82:83], s[28:29]
	v_mul_f64 v[106:107], v[80:81], s[28:29]
	;; [unrolled: 1-line block ×4, first 2 shown]
	v_fma_f64 v[168:169], v[37:38], s[26:27], v[116:117]
	v_add_f64 v[60:61], v[132:133], v[60:61]
	v_add_f64 v[58:59], v[62:63], v[58:59]
	v_fma_f64 v[62:63], v[41:42], s[22:23], -v[96:97]
	v_fma_f64 v[96:97], v[41:42], s[20:21], -v[108:109]
	v_fma_f64 v[108:109], v[43:44], s[20:21], v[110:111]
	v_fma_f64 v[41:42], v[41:42], s[18:19], -v[124:125]
	v_fma_f64 v[43:44], v[43:44], s[18:19], v[126:127]
	;; [unrolled: 2-line block ×3, first 2 shown]
	v_fma_f64 v[48:49], v[48:49], s[22:23], -v[128:129]
	v_fma_f64 v[170:171], v[39:40], s[26:27], -v[118:119]
	v_fma_f64 v[172:173], v[37:38], s[24:25], v[31:32]
	v_fma_f64 v[174:175], v[39:40], s[24:25], -v[134:135]
	v_add_f64 v[25:26], v[144:145], v[148:149]
	v_add_f64 v[11:12], v[11:12], v[15:16]
	v_mul_f64 v[15:16], v[82:83], s[12:13]
	v_mul_f64 v[17:18], v[80:81], s[12:13]
	v_fma_f64 v[110:111], v[37:38], s[18:19], v[152:153]
	v_fma_f64 v[124:125], v[39:40], s[18:19], -v[154:155]
	v_add_f64 v[29:30], v[136:137], v[29:30]
	v_add_f64 v[23:24], v[138:139], v[23:24]
	;; [unrolled: 1-line block ×4, first 2 shown]
	v_fma_f64 v[64:65], v[37:38], s[22:23], -v[76:77]
	v_add_f64 v[19:20], v[62:63], v[19:20]
	v_add_f64 v[33:34], v[96:97], v[68:69]
	;; [unrolled: 1-line block ×5, first 2 shown]
	v_fma_f64 v[68:69], v[50:51], s[26:27], v[98:99]
	v_fma_f64 v[50:51], v[50:51], s[22:23], v[130:131]
	v_mul_f64 v[84:85], v[82:83], s[34:35]
	v_mul_f64 v[86:87], v[80:81], s[34:35]
	v_add_f64 v[27:28], v[126:127], v[27:28]
	v_add_f64 v[88:89], v[132:133], v[94:95]
	v_fma_f64 v[94:95], v[37:38], s[18:19], -v[152:153]
	v_fma_f64 v[96:97], v[39:40], s[18:19], v[154:155]
	v_fma_f64 v[98:99], v[37:38], s[22:23], v[76:77]
	v_fma_f64 v[108:109], v[39:40], s[22:23], -v[74:75]
	v_mul_f64 v[82:83], v[82:83], s[6:7]
	v_mul_f64 v[80:81], v[80:81], s[6:7]
	v_fma_f64 v[66:67], v[39:40], s[22:23], v[74:75]
	v_fma_f64 v[31:32], v[37:38], s[24:25], -v[31:32]
	v_fma_f64 v[144:145], v[78:79], s[18:19], v[104:105]
	v_fma_f64 v[146:147], v[54:55], s[18:19], -v[106:107]
	v_add_f64 v[90:91], v[168:169], v[90:91]
	v_add_f64 v[19:20], v[35:36], v[19:20]
	;; [unrolled: 1-line block ×5, first 2 shown]
	v_fma_f64 v[48:49], v[37:38], s[20:21], -v[100:101]
	v_add_f64 v[21:22], v[68:69], v[21:22]
	v_add_f64 v[43:44], v[50:51], v[43:44]
	v_fma_f64 v[62:63], v[37:38], s[26:27], -v[116:117]
	v_fma_f64 v[68:69], v[39:40], s[26:27], v[118:119]
	v_fma_f64 v[37:38], v[39:40], s[24:25], v[134:135]
	;; [unrolled: 1-line block ×3, first 2 shown]
	v_add_f64 v[92:93], v[170:171], v[92:93]
	v_fma_f64 v[148:149], v[78:79], s[24:25], v[120:121]
	v_fma_f64 v[150:151], v[54:55], s[24:25], -v[122:123]
	v_add_f64 v[25:26], v[172:173], v[25:26]
	v_add_f64 v[52:53], v[174:175], v[52:53]
	v_fma_f64 v[160:161], v[78:79], s[20:21], v[15:16]
	v_fma_f64 v[162:163], v[54:55], s[20:21], -v[17:18]
	v_add_f64 v[39:40], v[110:111], v[58:59]
	;; [unrolled: 4-line block ×3, first 2 shown]
	v_add_f64 v[72:73], v[96:97], v[88:89]
	v_fma_f64 v[74:75], v[78:79], s[22:23], -v[84:85]
	v_fma_f64 v[76:77], v[54:55], s[22:23], v[86:87]
	v_add_f64 v[29:30], v[98:99], v[29:30]
	v_add_f64 v[84:85], v[108:109], v[23:24]
	v_fma_f64 v[86:87], v[78:79], s[26:27], v[82:83]
	v_fma_f64 v[88:89], v[54:55], s[26:27], -v[80:81]
	v_add_f64 v[64:65], v[64:65], v[5:6]
	v_add_f64 v[66:67], v[66:67], v[7:8]
	v_fma_f64 v[82:83], v[78:79], s[26:27], -v[82:83]
	v_fma_f64 v[80:81], v[54:55], s[26:27], v[80:81]
	v_add_f64 v[62:63], v[62:63], v[33:34]
	v_add_f64 v[35:36], v[68:69], v[35:36]
	;; [unrolled: 1-line block ×4, first 2 shown]
	v_fma_f64 v[33:34], v[78:79], s[18:19], -v[104:105]
	v_fma_f64 v[37:38], v[78:79], s[24:25], -v[120:121]
	;; [unrolled: 1-line block ×3, first 2 shown]
	v_fma_f64 v[78:79], v[54:55], s[20:21], v[17:18]
	v_fma_f64 v[94:95], v[54:55], s[24:25], v[122:123]
	v_add_f64 v[48:49], v[48:49], v[19:20]
	v_add_f64 v[50:51], v[50:51], v[21:22]
	v_fma_f64 v[54:55], v[54:55], s[18:19], v[106:107]
	v_add_f64 v[1:2], v[1:2], v[9:10]
	v_add_f64 v[3:4], v[3:4], v[11:12]
	;; [unrolled: 1-line block ×22, first 2 shown]
	v_mad_u32_u24 v54, 0x790, v57, 0
	v_lshl_add_u32 v46, v56, 4, v54
	ds_write_b128 v46, v[1:4]
	ds_write_b128 v46, v[5:8] offset:176
	ds_write_b128 v46, v[9:12] offset:352
	;; [unrolled: 1-line block ×10, first 2 shown]
	s_waitcnt lgkmcnt(0)
	s_barrier
	buffer_gl0_inv
	s_and_saveexec_b32 s40, s33
	s_cbranch_execz .LBB0_18
; %bb.17:
	v_mul_hi_u32 v1, 0x1745d175, v57
	v_mul_lo_u32 v25, v45, -11
	s_add_i32 s33, 0, 0x5330
	v_mul_hi_u32 v0, 0x21d9eae, v0
	v_mul_u32_u24_e32 v1, 11, v1
	v_sub_nc_u32_e32 v53, v57, v1
	v_add_nc_u32_e32 v1, 0x6e, v53
	v_mul_lo_u32 v9, v1, v45
	v_lshrrev_b32_e32 v1, 1, v9
	v_add_nc_u32_e32 v10, v9, v25
	v_and_b32_e32 v2, 31, v9
	v_lshrrev_b32_e32 v9, 6, v9
	v_and_b32_e32 v1, 0x1f0, v1
	v_lshrrev_b32_e32 v3, 1, v10
	v_lshl_add_u32 v2, v2, 4, 0
	v_and_b32_e32 v5, 31, v10
	v_add_nc_u32_e32 v17, v10, v25
	v_add_nc_u32_e32 v6, s33, v1
	v_and_b32_e32 v12, 0x1f0, v3
	ds_read_b128 v[1:4], v2 offset:21296
	v_lshl_add_u32 v11, v5, 4, 0
	v_and_b32_e32 v18, 31, v17
	ds_read_b128 v[5:8], v6 offset:512
	v_add_nc_u32_e32 v12, s33, v12
	v_add_nc_u32_e32 v43, v17, v25
	v_lshrrev_b32_e32 v10, 6, v10
	ds_read_b128 v[21:24], v11 offset:21296
	ds_read_b128 v[26:29], v12 offset:512
	v_lshrrev_b32_e32 v11, 1, v17
	v_lshl_add_u32 v18, v18, 4, 0
	v_lshrrev_b32_e32 v17, 6, v17
	v_and_b32_e32 v9, 0x1f0, v9
	v_and_b32_e32 v10, 0x1f0, v10
	;; [unrolled: 1-line block ×5, first 2 shown]
	v_add_nc_u32_e32 v9, s33, v9
	v_add_nc_u32_e32 v10, s33, v10
	;; [unrolled: 1-line block ×3, first 2 shown]
	v_lshl_add_u32 v37, v20, 4, 0
	v_add_nc_u32_e32 v17, s33, v17
	ds_read_b128 v[46:49], v18 offset:21296
	s_waitcnt lgkmcnt(3)
	v_mul_f64 v[30:31], v[3:4], v[7:8]
	v_mul_f64 v[7:8], v[1:2], v[7:8]
	ds_read_b128 v[39:42], v19 offset:512
	v_lshrrev_b32_e32 v18, 1, v43
	v_lshrrev_b32_e32 v19, 6, v43
	s_waitcnt lgkmcnt(2)
	v_mul_f64 v[35:36], v[21:22], v[28:29]
	v_mul_f64 v[33:34], v[23:24], v[28:29]
	ds_read_b128 v[13:16], v9 offset:1024
	v_and_b32_e32 v18, 0x1f0, v18
	v_and_b32_e32 v28, 0x1f0, v19
	v_add_nc_u32_e32 v38, s33, v18
	ds_read_b128 v[17:20], v17 offset:1024
	v_add_nc_u32_e32 v28, s33, v28
	ds_read_b128 v[9:12], v10 offset:1024
	v_fma_f64 v[29:30], v[1:2], v[5:6], -v[30:31]
	v_fma_f64 v[31:32], v[3:4], v[5:6], v[7:8]
	ds_read_b128 v[5:8], v37 offset:21296
	ds_read_b128 v[58:61], v38 offset:512
	;; [unrolled: 1-line block ×3, first 2 shown]
	v_add_nc_u32_e32 v28, v43, v25
	s_waitcnt lgkmcnt(6)
	v_mul_f64 v[37:38], v[48:49], v[41:42]
	v_fma_f64 v[35:36], v[23:24], v[26:27], v[35:36]
	v_fma_f64 v[33:34], v[21:22], v[26:27], -v[33:34]
	v_mul_f64 v[21:22], v[46:47], v[41:42]
	v_lshrrev_b32_e32 v23, 1, v28
	v_and_b32_e32 v24, 31, v28
	v_add_nc_u32_e32 v55, v28, v25
	v_and_b32_e32 v23, 0x1f0, v23
	v_lshl_add_u32 v41, v24, 4, 0
	v_add_nc_u32_e32 v42, s33, v23
	s_waitcnt lgkmcnt(1)
	v_mul_f64 v[26:27], v[5:6], v[60:61]
	v_mul_f64 v[23:24], v[7:8], v[60:61]
	ds_read_b128 v[60:63], v42 offset:512
	ds_read_b128 v[64:67], v41 offset:21296
	v_fma_f64 v[37:38], v[46:47], v[39:40], -v[37:38]
	v_fma_f64 v[39:40], v[48:49], v[39:40], v[21:22]
	v_lshrrev_b32_e32 v21, 6, v28
	v_lshrrev_b32_e32 v22, 6, v55
	v_and_b32_e32 v21, 0x1f0, v21
	v_and_b32_e32 v22, 0x1f0, v22
	v_add_nc_u32_e32 v21, s33, v21
	v_add_nc_u32_e32 v28, s33, v22
	v_fma_f64 v[43:44], v[7:8], v[58:59], v[26:27]
	s_waitcnt lgkmcnt(0)
	v_mul_f64 v[26:27], v[66:67], v[62:63]
	v_fma_f64 v[41:42], v[5:6], v[58:59], -v[23:24]
	ds_read_b128 v[21:24], v21 offset:1024
	ds_read_b128 v[5:8], v28 offset:1024
	v_fma_f64 v[49:50], v[64:65], v[60:61], -v[26:27]
	v_mul_f64 v[26:27], v[64:65], v[62:63]
	v_fma_f64 v[51:52], v[66:67], v[60:61], v[26:27]
	v_lshrrev_b32_e32 v26, 1, v55
	v_and_b32_e32 v27, 31, v55
	v_and_b32_e32 v26, 0x1f0, v26
	v_lshl_add_u32 v27, v27, 4, 0
	v_add_nc_u32_e32 v26, s33, v26
	ds_read_b128 v[58:61], v27 offset:21296
	ds_read_b128 v[62:65], v26 offset:512
	s_waitcnt lgkmcnt(0)
	v_mul_f64 v[26:27], v[60:61], v[64:65]
	v_fma_f64 v[90:91], v[58:59], v[62:63], -v[26:27]
	v_mul_f64 v[26:27], v[58:59], v[64:65]
	v_fma_f64 v[92:93], v[60:61], v[62:63], v[26:27]
	v_add_nc_u32_e32 v26, v55, v25
	v_add_nc_u32_e32 v46, v26, v25
	v_lshrrev_b32_e32 v27, 1, v26
	v_lshrrev_b32_e32 v28, 6, v26
	v_and_b32_e32 v26, 31, v26
	v_lshrrev_b32_e32 v47, 6, v46
	v_and_b32_e32 v27, 0x1f0, v27
	v_and_b32_e32 v28, 0x1f0, v28
	v_lshl_add_u32 v26, v26, 4, 0
	v_and_b32_e32 v47, 0x1f0, v47
	v_add_nc_u32_e32 v27, s33, v27
	v_add_nc_u32_e32 v28, s33, v28
	;; [unrolled: 1-line block ×3, first 2 shown]
	ds_read_b128 v[58:61], v27 offset:512
	ds_read_b128 v[62:65], v26 offset:21296
	;; [unrolled: 1-line block ×4, first 2 shown]
	s_waitcnt lgkmcnt(2)
	v_mul_f64 v[26:27], v[64:65], v[60:61]
	v_fma_f64 v[94:95], v[62:63], v[58:59], -v[26:27]
	v_mul_f64 v[26:27], v[62:63], v[60:61]
	v_fma_f64 v[96:97], v[64:65], v[58:59], v[26:27]
	v_lshrrev_b32_e32 v26, 1, v46
	v_and_b32_e32 v27, 31, v46
	v_and_b32_e32 v26, 0x1f0, v26
	v_lshl_add_u32 v27, v27, 4, 0
	v_add_nc_u32_e32 v26, s33, v26
	ds_read_b128 v[58:61], v27 offset:21296
	ds_read_b128 v[62:65], v26 offset:512
	s_waitcnt lgkmcnt(0)
	v_mul_f64 v[26:27], v[60:61], v[64:65]
	v_fma_f64 v[98:99], v[58:59], v[62:63], -v[26:27]
	v_mul_f64 v[26:27], v[58:59], v[64:65]
	v_fma_f64 v[100:101], v[60:61], v[62:63], v[26:27]
	v_add_nc_u32_e32 v26, v46, v25
	v_add_nc_u32_e32 v48, v26, v25
	v_lshrrev_b32_e32 v27, 1, v26
	v_lshrrev_b32_e32 v25, 6, v26
	v_and_b32_e32 v26, 31, v26
	v_lshrrev_b32_e32 v28, 6, v48
	v_and_b32_e32 v27, 0x1f0, v27
	v_and_b32_e32 v25, 0x1f0, v25
	v_lshl_add_u32 v46, v26, 4, 0
	v_and_b32_e32 v28, 0x1f0, v28
	v_add_nc_u32_e32 v27, s33, v27
	v_add_nc_u32_e32 v47, s33, v25
	;; [unrolled: 1-line block ×3, first 2 shown]
	ds_read_b128 v[25:28], v27 offset:512
	ds_read_b128 v[58:61], v46 offset:21296
	;; [unrolled: 1-line block ×4, first 2 shown]
	v_mul_i32_i24_e32 v55, 0xfffff920, v57
	v_lshlrev_b32_e32 v57, 4, v56
	s_waitcnt lgkmcnt(2)
	v_mul_f64 v[46:47], v[60:61], v[27:28]
	v_mul_f64 v[27:28], v[58:59], v[27:28]
	v_fma_f64 v[102:103], v[58:59], v[25:26], -v[46:47]
	v_fma_f64 v[104:105], v[60:61], v[25:26], v[27:28]
	v_lshrrev_b32_e32 v25, 1, v48
	v_and_b32_e32 v26, 31, v48
	v_and_b32_e32 v25, 0x1f0, v25
	v_lshl_add_u32 v26, v26, 4, 0
	v_add_nc_u32_e32 v46, s33, v25
	ds_read_b128 v[25:28], v26 offset:21296
	ds_read_b128 v[58:61], v46 offset:512
	s_waitcnt lgkmcnt(0)
	v_mul_f64 v[46:47], v[27:28], v[60:61]
	v_fma_f64 v[106:107], v[25:26], v[58:59], -v[46:47]
	v_mul_f64 v[25:26], v[25:26], v[60:61]
	v_fma_f64 v[108:109], v[27:28], v[58:59], v[25:26]
	v_mul_lo_u32 v25, v53, v45
	v_lshrrev_b32_e32 v26, 1, v25
	v_lshrrev_b32_e32 v27, 6, v25
	v_and_b32_e32 v25, 31, v25
	v_and_b32_e32 v26, 0x1f0, v26
	;; [unrolled: 1-line block ×3, first 2 shown]
	v_lshl_add_u32 v25, v25, 4, 0
	v_add_nc_u32_e32 v26, s33, v26
	v_add_nc_u32_e32 v27, s33, v27
	ds_read_b128 v[58:61], v26 offset:512
	ds_read_b128 v[78:81], v25 offset:21296
	;; [unrolled: 1-line block ×3, first 2 shown]
	s_waitcnt lgkmcnt(1)
	v_mul_f64 v[45:46], v[80:81], v[60:61]
	v_mul_f64 v[47:48], v[78:79], v[60:61]
	v_add3_u32 v61, v54, v55, v57
	v_mul_u32_u24_e32 v54, 10, v53
	v_lshlrev_b32_e32 v136, 4, v54
	v_fma_f64 v[45:46], v[78:79], v[58:59], -v[45:46]
	v_fma_f64 v[47:48], v[80:81], v[58:59], v[47:48]
	s_clause 0x1
	global_load_dwordx4 v[57:60], v136, s[16:17] offset:64
	global_load_dwordx4 v[78:81], v136, s[16:17] offset:80
	ds_read_b128 v[82:85], v61 offset:9680
	ds_read_b128 v[86:89], v61 offset:7744
	s_waitcnt vmcnt(1) lgkmcnt(1)
	v_mul_f64 v[54:55], v[84:85], v[59:60]
	v_mul_f64 v[59:60], v[82:83], v[59:60]
	v_fma_f64 v[54:55], v[82:83], v[57:58], v[54:55]
	v_fma_f64 v[110:111], v[84:85], v[57:58], -v[59:60]
	ds_read_b128 v[57:60], v61 offset:11616
	ds_read_b128 v[82:85], v61 offset:13552
	s_waitcnt vmcnt(0) lgkmcnt(1)
	v_mul_f64 v[112:113], v[59:60], v[80:81]
	v_fma_f64 v[112:113], v[57:58], v[78:79], v[112:113]
	v_mul_f64 v[57:58], v[57:58], v[80:81]
	v_add_f64 v[154:155], v[54:55], v[112:113]
	v_fma_f64 v[114:115], v[59:60], v[78:79], -v[57:58]
	s_clause 0x1
	global_load_dwordx4 v[57:60], v136, s[16:17] offset:48
	global_load_dwordx4 v[78:81], v136, s[16:17] offset:32
	v_add_f64 v[158:159], v[54:55], -v[112:113]
	v_add_f64 v[152:153], v[110:111], -v[114:115]
	v_add_f64 v[160:161], v[110:111], v[114:115]
	v_mul_f64 v[162:163], v[158:159], s[28:29]
	v_mul_f64 v[180:181], v[158:159], s[30:31]
	;; [unrolled: 1-line block ×8, first 2 shown]
	s_waitcnt vmcnt(1)
	v_mul_f64 v[116:117], v[88:89], v[59:60]
	v_mul_f64 v[59:60], v[86:87], v[59:60]
	v_fma_f64 v[116:117], v[86:87], v[57:58], v[116:117]
	v_fma_f64 v[118:119], v[88:89], v[57:58], -v[59:60]
	s_clause 0x1
	global_load_dwordx4 v[57:60], v136, s[16:17] offset:96
	global_load_dwordx4 v[86:89], v136, s[16:17] offset:112
	s_waitcnt vmcnt(1) lgkmcnt(0)
	v_mul_f64 v[120:121], v[84:85], v[59:60]
	v_mul_f64 v[59:60], v[82:83], v[59:60]
	v_fma_f64 v[120:121], v[82:83], v[57:58], v[120:121]
	v_fma_f64 v[122:123], v[84:85], v[57:58], -v[59:60]
	ds_read_b128 v[57:60], v61 offset:5808
	ds_read_b128 v[82:85], v61 offset:3872
	s_waitcnt lgkmcnt(1)
	v_mul_f64 v[124:125], v[59:60], v[80:81]
	v_add_f64 v[148:149], v[116:117], v[120:121]
	v_add_f64 v[142:143], v[118:119], v[122:123]
	v_add_f64 v[146:147], v[118:119], -v[122:123]
	v_fma_f64 v[124:125], v[57:58], v[78:79], v[124:125]
	v_mul_f64 v[57:58], v[57:58], v[80:81]
	v_mul_f64 v[150:151], v[146:147], s[12:13]
	;; [unrolled: 1-line block ×4, first 2 shown]
	v_fma_f64 v[126:127], v[59:60], v[78:79], -v[57:58]
	ds_read_b128 v[57:60], v61 offset:15488
	ds_read_b128 v[78:81], v61 offset:17424
	s_waitcnt vmcnt(0) lgkmcnt(1)
	v_mul_f64 v[128:129], v[59:60], v[88:89]
	v_fma_f64 v[128:129], v[57:58], v[86:87], v[128:129]
	v_mul_f64 v[57:58], v[57:58], v[88:89]
	v_fma_f64 v[130:131], v[59:60], v[86:87], -v[57:58]
	s_clause 0x1
	global_load_dwordx4 v[57:60], v136, s[16:17] offset:16
	global_load_dwordx4 v[86:89], v136, s[16:17]
	s_waitcnt vmcnt(1)
	v_mul_f64 v[132:133], v[84:85], v[59:60]
	v_mul_f64 v[59:60], v[82:83], v[59:60]
	v_fma_f64 v[132:133], v[82:83], v[57:58], v[132:133]
	v_fma_f64 v[134:135], v[84:85], v[57:58], -v[59:60]
	s_clause 0x1
	global_load_dwordx4 v[57:60], v136, s[16:17] offset:128
	global_load_dwordx4 v[82:85], v136, s[16:17] offset:144
	s_waitcnt vmcnt(1) lgkmcnt(0)
	v_mul_f64 v[136:137], v[80:81], v[59:60]
	v_mul_f64 v[59:60], v[78:79], v[59:60]
	v_fma_f64 v[136:137], v[78:79], v[57:58], v[136:137]
	v_fma_f64 v[138:139], v[80:81], v[57:58], -v[59:60]
	ds_read_b128 v[57:60], v61 offset:1936
	ds_read_b128 v[78:81], v61
	s_waitcnt lgkmcnt(1)
	v_mul_f64 v[140:141], v[59:60], v[88:89]
	v_fma_f64 v[140:141], v[57:58], v[86:87], v[140:141]
	v_mul_f64 v[57:58], v[57:58], v[88:89]
	v_fma_f64 v[86:87], v[59:60], v[86:87], -v[57:58]
	ds_read_b128 v[57:60], v61 offset:19360
	s_waitcnt vmcnt(0) lgkmcnt(0)
	v_mul_f64 v[88:89], v[59:60], v[84:85]
	v_fma_f64 v[88:89], v[57:58], v[82:83], v[88:89]
	v_mul_f64 v[57:58], v[57:58], v[84:85]
	v_fma_f64 v[57:58], v[59:60], v[82:83], -v[57:58]
	v_mul_f64 v[59:60], v[31:32], v[15:16]
	v_mul_f64 v[15:16], v[29:30], v[15:16]
	v_add_f64 v[82:83], v[140:141], v[88:89]
	v_fma_f64 v[59:60], v[13:14], v[29:30], -v[59:60]
	v_fma_f64 v[13:14], v[13:14], v[31:32], v[15:16]
	v_mul_f64 v[15:16], v[35:36], v[11:12]
	v_mul_f64 v[11:12], v[33:34], v[11:12]
	v_fma_f64 v[15:16], v[9:10], v[33:34], -v[15:16]
	v_fma_f64 v[9:10], v[9:10], v[35:36], v[11:12]
	v_mul_f64 v[11:12], v[39:40], v[19:20]
	v_fma_f64 v[29:30], v[17:18], v[37:38], -v[11:12]
	v_mul_f64 v[11:12], v[37:38], v[19:20]
	v_fma_f64 v[11:12], v[17:18], v[39:40], v[11:12]
	v_mul_f64 v[17:18], v[43:44], v[3:4]
	v_mul_f64 v[3:4], v[41:42], v[3:4]
	v_fma_f64 v[17:18], v[1:2], v[41:42], -v[17:18]
	v_fma_f64 v[19:20], v[1:2], v[43:44], v[3:4]
	v_mul_f64 v[1:2], v[51:52], v[23:24]
	v_fma_f64 v[31:32], v[21:22], v[49:50], -v[1:2]
	v_mul_f64 v[1:2], v[49:50], v[23:24]
	v_fma_f64 v[21:22], v[21:22], v[51:52], v[1:2]
	v_mul_f64 v[1:2], v[92:93], v[7:8]
	v_fma_f64 v[33:34], v[5:6], v[90:91], -v[1:2]
	v_mul_f64 v[1:2], v[90:91], v[7:8]
	v_add_f64 v[90:91], v[134:135], -v[138:139]
	v_fma_f64 v[23:24], v[5:6], v[92:93], v[1:2]
	v_mul_f64 v[1:2], v[96:97], v[68:69]
	v_add_f64 v[92:93], v[132:133], v[136:137]
	v_mul_f64 v[168:169], v[90:91], s[12:13]
	v_mul_f64 v[188:189], v[90:91], s[38:39]
	;; [unrolled: 1-line block ×3, first 2 shown]
	v_fma_f64 v[35:36], v[66:67], v[94:95], -v[1:2]
	v_mul_f64 v[1:2], v[94:95], v[68:69]
	v_mul_f64 v[94:95], v[90:91], s[14:15]
	;; [unrolled: 1-line block ×3, first 2 shown]
	v_fma_f64 v[208:209], v[92:93], s[26:27], -v[206:207]
	v_fma_f64 v[37:38], v[66:67], v[96:97], v[1:2]
	v_mul_f64 v[1:2], v[100:101], v[72:73]
	v_add_f64 v[96:97], v[124:125], -v[128:129]
	v_fma_f64 v[5:6], v[92:93], s[22:23], -v[94:95]
	v_fma_f64 v[39:40], v[70:71], v[98:99], -v[1:2]
	v_mul_f64 v[1:2], v[98:99], v[72:73]
	v_add_f64 v[98:99], v[126:127], v[130:131]
	v_mul_f64 v[170:171], v[96:97], s[38:39]
	v_mul_f64 v[190:191], v[96:97], s[34:35]
	v_fma_f64 v[41:42], v[70:71], v[100:101], v[1:2]
	v_mul_f64 v[1:2], v[104:105], v[64:65]
	v_add_f64 v[69:70], v[132:133], -v[136:137]
	v_add_f64 v[71:72], v[134:135], v[138:139]
	v_mul_f64 v[100:101], v[96:97], s[6:7]
	v_fma_f64 v[43:44], v[62:63], v[102:103], -v[1:2]
	v_mul_f64 v[1:2], v[102:103], v[64:65]
	v_add_f64 v[65:66], v[86:87], v[57:58]
	v_add_f64 v[102:103], v[126:127], -v[130:131]
	v_mul_f64 v[164:165], v[69:70], s[12:13]
	v_mul_f64 v[184:185], v[69:70], s[38:39]
	v_fma_f64 v[49:50], v[62:63], v[104:105], v[1:2]
	v_mul_f64 v[1:2], v[108:109], v[76:77]
	v_add_f64 v[63:64], v[140:141], -v[88:89]
	v_add_f64 v[104:105], v[124:125], v[128:129]
	v_mul_f64 v[172:173], v[102:103], s[38:39]
	v_mul_f64 v[192:193], v[102:103], s[34:35]
	v_fma_f64 v[51:52], v[74:75], v[106:107], -v[1:2]
	v_mul_f64 v[1:2], v[106:107], v[76:77]
	v_mul_f64 v[67:68], v[63:64], s[10:11]
	;; [unrolled: 1-line block ×4, first 2 shown]
	v_fma_f64 v[61:62], v[74:75], v[108:109], v[1:2]
	v_fma_f64 v[1:2], v[65:66], s[24:25], v[67:68]
	v_mul_f64 v[73:74], v[69:70], s[14:15]
	v_add_f64 v[75:76], v[86:87], -v[57:58]
	v_add_f64 v[108:109], v[116:117], -v[120:121]
	v_add_f64 v[1:2], v[80:81], v[1:2]
	v_fma_f64 v[3:4], v[71:72], s[22:23], v[73:74]
	v_mul_f64 v[84:85], v[75:76], s[10:11]
	v_mul_f64 v[144:145], v[108:109], s[12:13]
	;; [unrolled: 1-line block ×8, first 2 shown]
	v_add_f64 v[1:2], v[3:4], v[1:2]
	v_fma_f64 v[3:4], v[82:83], s[24:25], -v[84:85]
	v_add_f64 v[3:4], v[78:79], v[3:4]
	v_add_f64 v[3:4], v[5:6], v[3:4]
	v_fma_f64 v[5:6], v[98:99], s[26:27], v[100:101]
	v_add_f64 v[1:2], v[5:6], v[1:2]
	v_fma_f64 v[5:6], v[104:105], s[26:27], -v[106:107]
	v_add_f64 v[3:4], v[5:6], v[3:4]
	v_fma_f64 v[5:6], v[142:143], s[20:21], v[144:145]
	v_add_f64 v[1:2], v[5:6], v[1:2]
	v_fma_f64 v[5:6], v[148:149], s[20:21], -v[150:151]
	v_add_f64 v[3:4], v[5:6], v[3:4]
	v_fma_f64 v[5:6], v[154:155], s[18:19], -v[156:157]
	v_add_f64 v[5:6], v[5:6], v[3:4]
	v_fma_f64 v[3:4], v[160:161], s[18:19], v[162:163]
	v_add_f64 v[1:2], v[3:4], v[1:2]
	v_mul_f64 v[3:4], v[5:6], v[13:14]
	v_mul_f64 v[7:8], v[1:2], v[13:14]
	v_fma_f64 v[3:4], v[1:2], v[59:60], -v[3:4]
	v_fma_f64 v[13:14], v[92:93], s[20:21], -v[168:169]
	v_fma_f64 v[1:2], v[5:6], v[59:60], v[7:8]
	v_mul_f64 v[59:60], v[63:64], s[14:15]
	v_fma_f64 v[7:8], v[71:72], s[20:21], v[164:165]
	v_fma_f64 v[5:6], v[65:66], s[22:23], v[59:60]
	v_add_f64 v[5:6], v[80:81], v[5:6]
	v_add_f64 v[5:6], v[7:8], v[5:6]
	v_fma_f64 v[7:8], v[82:83], s[22:23], -v[166:167]
	v_add_f64 v[7:8], v[78:79], v[7:8]
	v_add_f64 v[7:8], v[13:14], v[7:8]
	v_fma_f64 v[13:14], v[98:99], s[18:19], v[170:171]
	v_add_f64 v[5:6], v[13:14], v[5:6]
	v_fma_f64 v[13:14], v[104:105], s[18:19], -v[172:173]
	v_add_f64 v[7:8], v[13:14], v[7:8]
	v_fma_f64 v[13:14], v[142:143], s[26:27], v[174:175]
	v_add_f64 v[5:6], v[13:14], v[5:6]
	v_fma_f64 v[13:14], v[148:149], s[26:27], -v[176:177]
	v_add_f64 v[7:8], v[13:14], v[7:8]
	v_fma_f64 v[13:14], v[154:155], s[24:25], -v[178:179]
	v_add_f64 v[13:14], v[13:14], v[7:8]
	v_fma_f64 v[7:8], v[160:161], s[24:25], v[180:181]
	v_add_f64 v[5:6], v[7:8], v[5:6]
	v_mul_f64 v[7:8], v[13:14], v[9:10]
	v_mul_f64 v[9:10], v[5:6], v[9:10]
	v_fma_f64 v[7:8], v[5:6], v[15:16], -v[7:8]
	v_fma_f64 v[5:6], v[13:14], v[15:16], v[9:10]
	v_fma_f64 v[9:10], v[65:66], s[26:27], v[182:183]
	;; [unrolled: 1-line block ×3, first 2 shown]
	v_fma_f64 v[15:16], v[92:93], s[18:19], -v[188:189]
	v_add_f64 v[9:10], v[80:81], v[9:10]
	v_add_f64 v[9:10], v[13:14], v[9:10]
	v_fma_f64 v[13:14], v[82:83], s[26:27], -v[186:187]
	v_add_f64 v[13:14], v[78:79], v[13:14]
	v_add_f64 v[13:14], v[15:16], v[13:14]
	v_fma_f64 v[15:16], v[98:99], s[22:23], v[190:191]
	v_add_f64 v[9:10], v[15:16], v[9:10]
	v_fma_f64 v[15:16], v[104:105], s[22:23], -v[192:193]
	v_add_f64 v[13:14], v[15:16], v[13:14]
	v_fma_f64 v[15:16], v[142:143], s[24:25], v[194:195]
	v_add_f64 v[9:10], v[15:16], v[9:10]
	v_fma_f64 v[15:16], v[148:149], s[24:25], -v[196:197]
	v_add_f64 v[13:14], v[15:16], v[13:14]
	v_fma_f64 v[15:16], v[154:155], s[20:21], -v[198:199]
	v_add_f64 v[13:14], v[15:16], v[13:14]
	v_fma_f64 v[15:16], v[160:161], s[20:21], v[200:201]
	v_add_f64 v[9:10], v[15:16], v[9:10]
	v_mul_f64 v[15:16], v[13:14], v[11:12]
	v_mul_f64 v[202:203], v[9:10], v[11:12]
	v_fma_f64 v[11:12], v[9:10], v[29:30], -v[15:16]
	v_fma_f64 v[9:10], v[13:14], v[29:30], v[202:203]
	v_mul_f64 v[29:30], v[63:64], s[12:13]
	v_mul_f64 v[202:203], v[69:70], s[36:37]
	;; [unrolled: 1-line block ×4, first 2 shown]
	v_fma_f64 v[13:14], v[65:66], s[20:21], v[29:30]
	v_fma_f64 v[15:16], v[71:72], s[26:27], v[202:203]
	v_fma_f64 v[29:30], v[65:66], s[20:21], -v[29:30]
	v_add_f64 v[13:14], v[80:81], v[13:14]
	v_add_f64 v[29:30], v[80:81], v[29:30]
	;; [unrolled: 1-line block ×3, first 2 shown]
	v_fma_f64 v[15:16], v[82:83], s[20:21], -v[204:205]
	v_add_f64 v[15:16], v[78:79], v[15:16]
	v_add_f64 v[15:16], v[208:209], v[15:16]
	v_mul_f64 v[208:209], v[96:97], s[10:11]
	v_mul_f64 v[96:97], v[96:97], s[12:13]
	v_fma_f64 v[210:211], v[98:99], s[24:25], v[208:209]
	v_add_f64 v[13:14], v[210:211], v[13:14]
	v_mul_f64 v[210:211], v[102:103], s[10:11]
	v_mul_f64 v[102:103], v[102:103], s[12:13]
	v_fma_f64 v[212:213], v[104:105], s[24:25], -v[210:211]
	v_add_f64 v[15:16], v[212:213], v[15:16]
	v_mul_f64 v[212:213], v[108:109], s[28:29]
	v_mul_f64 v[108:109], v[108:109], s[34:35]
	v_fma_f64 v[214:215], v[142:143], s[18:19], v[212:213]
	v_add_f64 v[13:14], v[214:215], v[13:14]
	v_mul_f64 v[214:215], v[146:147], s[28:29]
	v_mul_f64 v[146:147], v[146:147], s[34:35]
	v_fma_f64 v[216:217], v[148:149], s[18:19], -v[214:215]
	v_add_f64 v[15:16], v[216:217], v[15:16]
	v_mul_f64 v[216:217], v[152:153], s[34:35]
	v_mul_f64 v[152:153], v[152:153], s[6:7]
	v_fma_f64 v[218:219], v[154:155], s[22:23], -v[216:217]
	v_add_f64 v[218:219], v[218:219], v[15:16]
	v_fma_f64 v[15:16], v[160:161], s[22:23], v[220:221]
	v_add_f64 v[13:14], v[15:16], v[13:14]
	v_mul_f64 v[15:16], v[218:219], v[19:20]
	v_mul_f64 v[19:20], v[13:14], v[19:20]
	v_fma_f64 v[15:16], v[13:14], v[17:18], -v[15:16]
	v_fma_f64 v[13:14], v[218:219], v[17:18], v[19:20]
	v_fma_f64 v[17:18], v[65:66], s[18:19], v[63:64]
	;; [unrolled: 1-line block ×3, first 2 shown]
	v_fma_f64 v[218:219], v[92:93], s[24:25], -v[90:91]
	v_add_f64 v[17:18], v[80:81], v[17:18]
	v_add_f64 v[17:18], v[19:20], v[17:18]
	v_fma_f64 v[19:20], v[82:83], s[18:19], -v[75:76]
	v_add_f64 v[19:20], v[78:79], v[19:20]
	v_add_f64 v[19:20], v[218:219], v[19:20]
	v_fma_f64 v[218:219], v[98:99], s[20:21], v[96:97]
	v_add_f64 v[17:18], v[218:219], v[17:18]
	v_fma_f64 v[218:219], v[104:105], s[20:21], -v[102:103]
	v_add_f64 v[19:20], v[218:219], v[19:20]
	v_fma_f64 v[218:219], v[142:143], s[22:23], v[108:109]
	v_add_f64 v[17:18], v[218:219], v[17:18]
	v_fma_f64 v[218:219], v[148:149], s[22:23], -v[146:147]
	v_add_f64 v[19:20], v[218:219], v[19:20]
	v_fma_f64 v[218:219], v[154:155], s[26:27], -v[152:153]
	v_add_f64 v[218:219], v[218:219], v[19:20]
	v_fma_f64 v[19:20], v[160:161], s[26:27], v[158:159]
	v_add_f64 v[17:18], v[19:20], v[17:18]
	v_mul_f64 v[19:20], v[218:219], v[21:22]
	v_mul_f64 v[21:22], v[17:18], v[21:22]
	v_fma_f64 v[19:20], v[17:18], v[31:32], -v[19:20]
	v_fma_f64 v[17:18], v[218:219], v[31:32], v[21:22]
	v_fma_f64 v[21:22], v[65:66], s[18:19], -v[63:64]
	v_fma_f64 v[31:32], v[71:72], s[24:25], -v[69:70]
	v_fma_f64 v[63:64], v[92:93], s[24:25], v[90:91]
	v_add_f64 v[21:22], v[80:81], v[21:22]
	v_add_f64 v[21:22], v[31:32], v[21:22]
	v_fma_f64 v[31:32], v[82:83], s[18:19], v[75:76]
	v_add_f64 v[31:32], v[78:79], v[31:32]
	v_add_f64 v[31:32], v[63:64], v[31:32]
	v_fma_f64 v[63:64], v[98:99], s[20:21], -v[96:97]
	v_add_f64 v[21:22], v[63:64], v[21:22]
	v_fma_f64 v[63:64], v[104:105], s[20:21], v[102:103]
	v_add_f64 v[31:32], v[63:64], v[31:32]
	v_fma_f64 v[63:64], v[142:143], s[22:23], -v[108:109]
	v_add_f64 v[21:22], v[63:64], v[21:22]
	v_fma_f64 v[63:64], v[148:149], s[22:23], v[146:147]
	v_add_f64 v[31:32], v[63:64], v[31:32]
	v_fma_f64 v[63:64], v[154:155], s[26:27], v[152:153]
	v_add_f64 v[31:32], v[63:64], v[31:32]
	v_fma_f64 v[63:64], v[160:161], s[26:27], -v[158:159]
	v_add_f64 v[21:22], v[63:64], v[21:22]
	v_mul_f64 v[63:64], v[31:32], v[23:24]
	v_mul_f64 v[69:70], v[21:22], v[23:24]
	v_fma_f64 v[23:24], v[21:22], v[33:34], -v[63:64]
	v_fma_f64 v[63:64], v[104:105], s[26:27], v[106:107]
	v_fma_f64 v[21:22], v[31:32], v[33:34], v[69:70]
	v_fma_f64 v[31:32], v[71:72], s[26:27], -v[202:203]
	v_fma_f64 v[33:34], v[92:93], s[26:27], v[206:207]
	v_add_f64 v[29:30], v[31:32], v[29:30]
	v_fma_f64 v[31:32], v[82:83], s[20:21], v[204:205]
	v_add_f64 v[31:32], v[78:79], v[31:32]
	v_add_f64 v[31:32], v[33:34], v[31:32]
	v_fma_f64 v[33:34], v[98:99], s[24:25], -v[208:209]
	v_add_f64 v[29:30], v[33:34], v[29:30]
	v_fma_f64 v[33:34], v[104:105], s[24:25], v[210:211]
	v_add_f64 v[31:32], v[33:34], v[31:32]
	v_fma_f64 v[33:34], v[142:143], s[18:19], -v[212:213]
	v_add_f64 v[29:30], v[33:34], v[29:30]
	v_fma_f64 v[33:34], v[148:149], s[18:19], v[214:215]
	v_add_f64 v[31:32], v[33:34], v[31:32]
	v_fma_f64 v[33:34], v[154:155], s[22:23], v[216:217]
	v_add_f64 v[33:34], v[33:34], v[31:32]
	v_fma_f64 v[31:32], v[160:161], s[22:23], -v[220:221]
	v_add_f64 v[29:30], v[31:32], v[29:30]
	v_mul_f64 v[31:32], v[33:34], v[37:38]
	v_mul_f64 v[37:38], v[29:30], v[37:38]
	v_fma_f64 v[31:32], v[29:30], v[35:36], -v[31:32]
	v_fma_f64 v[29:30], v[33:34], v[35:36], v[37:38]
	v_fma_f64 v[33:34], v[65:66], s[26:27], -v[182:183]
	v_fma_f64 v[35:36], v[71:72], s[18:19], -v[184:185]
	v_fma_f64 v[37:38], v[92:93], s[18:19], v[188:189]
	v_add_f64 v[33:34], v[80:81], v[33:34]
	v_add_f64 v[33:34], v[35:36], v[33:34]
	v_fma_f64 v[35:36], v[82:83], s[26:27], v[186:187]
	v_add_f64 v[35:36], v[78:79], v[35:36]
	v_add_f64 v[35:36], v[37:38], v[35:36]
	v_fma_f64 v[37:38], v[98:99], s[22:23], -v[190:191]
	v_add_f64 v[33:34], v[37:38], v[33:34]
	v_fma_f64 v[37:38], v[104:105], s[22:23], v[192:193]
	v_add_f64 v[35:36], v[37:38], v[35:36]
	v_fma_f64 v[37:38], v[142:143], s[24:25], -v[194:195]
	v_add_f64 v[33:34], v[37:38], v[33:34]
	v_fma_f64 v[37:38], v[148:149], s[24:25], v[196:197]
	v_add_f64 v[35:36], v[37:38], v[35:36]
	v_fma_f64 v[37:38], v[154:155], s[20:21], v[198:199]
	v_add_f64 v[37:38], v[37:38], v[35:36]
	v_fma_f64 v[35:36], v[160:161], s[20:21], -v[200:201]
	v_add_f64 v[33:34], v[35:36], v[33:34]
	v_mul_f64 v[35:36], v[37:38], v[41:42]
	v_mul_f64 v[41:42], v[33:34], v[41:42]
	v_fma_f64 v[35:36], v[33:34], v[39:40], -v[35:36]
	v_fma_f64 v[33:34], v[37:38], v[39:40], v[41:42]
	v_fma_f64 v[37:38], v[65:66], s[22:23], -v[59:60]
	v_fma_f64 v[39:40], v[71:72], s[20:21], -v[164:165]
	v_fma_f64 v[41:42], v[92:93], s[20:21], v[168:169]
	v_fma_f64 v[59:60], v[65:66], s[24:25], -v[67:68]
	v_fma_f64 v[65:66], v[92:93], s[22:23], v[94:95]
	v_add_f64 v[37:38], v[80:81], v[37:38]
	v_add_f64 v[59:60], v[80:81], v[59:60]
	;; [unrolled: 1-line block ×3, first 2 shown]
	v_fma_f64 v[39:40], v[82:83], s[22:23], v[166:167]
	v_add_f64 v[39:40], v[78:79], v[39:40]
	v_add_f64 v[39:40], v[41:42], v[39:40]
	v_fma_f64 v[41:42], v[98:99], s[18:19], -v[170:171]
	v_add_f64 v[37:38], v[41:42], v[37:38]
	v_fma_f64 v[41:42], v[104:105], s[18:19], v[172:173]
	v_add_f64 v[39:40], v[41:42], v[39:40]
	v_fma_f64 v[41:42], v[142:143], s[26:27], -v[174:175]
	v_add_f64 v[37:38], v[41:42], v[37:38]
	v_fma_f64 v[41:42], v[148:149], s[26:27], v[176:177]
	v_add_f64 v[39:40], v[41:42], v[39:40]
	v_fma_f64 v[41:42], v[154:155], s[24:25], v[178:179]
	v_add_f64 v[41:42], v[41:42], v[39:40]
	v_fma_f64 v[39:40], v[160:161], s[24:25], -v[180:181]
	v_add_f64 v[37:38], v[39:40], v[37:38]
	v_mul_f64 v[39:40], v[41:42], v[49:50]
	v_mul_f64 v[49:50], v[37:38], v[49:50]
	v_fma_f64 v[39:40], v[37:38], v[43:44], -v[39:40]
	v_fma_f64 v[37:38], v[41:42], v[43:44], v[49:50]
	v_fma_f64 v[41:42], v[82:83], s[24:25], v[84:85]
	v_fma_f64 v[49:50], v[71:72], s[22:23], -v[73:74]
	v_fma_f64 v[43:44], v[98:99], s[26:27], -v[100:101]
	v_add_f64 v[41:42], v[78:79], v[41:42]
	v_add_f64 v[49:50], v[49:50], v[59:60]
	v_fma_f64 v[59:60], v[142:143], s[20:21], -v[144:145]
	v_add_f64 v[41:42], v[65:66], v[41:42]
	v_fma_f64 v[65:66], v[148:149], s[20:21], v[150:151]
	v_add_f64 v[43:44], v[43:44], v[49:50]
	v_fma_f64 v[49:50], v[160:161], s[18:19], -v[162:163]
	v_add_f64 v[41:42], v[63:64], v[41:42]
	v_fma_f64 v[63:64], v[154:155], s[18:19], v[156:157]
	v_add_f64 v[43:44], v[59:60], v[43:44]
	v_add_f64 v[41:42], v[65:66], v[41:42]
	;; [unrolled: 1-line block ×4, first 2 shown]
	v_mul_f64 v[59:60], v[43:44], v[61:62]
	v_mul_f64 v[49:50], v[41:42], v[61:62]
	v_fma_f64 v[41:42], v[41:42], v[51:52], v[59:60]
	v_mad_u32_u24 v59, 0x79, v0, v53
	v_add_nc_u32_e32 v60, 11, v59
	v_fma_f64 v[43:44], v[43:44], v[51:52], -v[49:50]
	v_add_f64 v[49:50], v[78:79], v[140:141]
	v_add_f64 v[51:52], v[80:81], v[86:87]
	;; [unrolled: 1-line block ×10, first 2 shown]
	v_mul_f64 v[54:55], v[45:46], v[27:28]
	v_mul_f64 v[27:28], v[47:48], v[27:28]
	v_add_f64 v[49:50], v[49:50], v[112:113]
	v_add_f64 v[51:52], v[51:52], v[114:115]
	v_fma_f64 v[54:55], v[25:26], v[47:48], v[54:55]
	v_fma_f64 v[25:26], v[25:26], v[45:46], -v[27:28]
	v_add_f64 v[49:50], v[49:50], v[120:121]
	v_add_f64 v[51:52], v[51:52], v[122:123]
	;; [unrolled: 1-line block ×8, first 2 shown]
	v_mad_u64_u32 v[51:52], null, s2, v56, 0
	v_mov_b32_e32 v0, v52
	v_mul_f64 v[27:28], v[49:50], v[54:55]
	v_mul_f64 v[45:46], v[47:48], v[54:55]
	v_mad_u64_u32 v[53:54], null, s0, v59, 0
	v_mad_u64_u32 v[55:56], null, s3, v56, v[0:1]
	s_lshl_b64 s[2:3], s[4:5], 4
	s_add_u32 s2, s8, s2
	s_addc_u32 s3, s9, s3
	v_mov_b32_e32 v0, v54
	v_mov_b32_e32 v52, v55
	v_add_nc_u32_e32 v55, 33, v59
	v_mad_u64_u32 v[56:57], null, s1, v59, v[0:1]
	v_mad_u64_u32 v[57:58], null, s0, v60, 0
	v_fma_f64 v[27:28], v[47:48], v[25:26], -v[27:28]
	v_fma_f64 v[25:26], v[49:50], v[25:26], v[45:46]
	v_lshlrev_b64 v[45:46], 4, v[51:52]
	v_mov_b32_e32 v0, v58
	v_add_nc_u32_e32 v52, 22, v59
	v_mov_b32_e32 v54, v56
	v_mad_u64_u32 v[49:50], null, s1, v60, v[0:1]
	v_mad_u64_u32 v[50:51], null, s0, v52, 0
	v_lshlrev_b64 v[47:48], 4, v[53:54]
	v_add_co_u32 v53, vcc_lo, s2, v45
	v_add_co_ci_u32_e32 v54, vcc_lo, s3, v46, vcc_lo
	v_mov_b32_e32 v58, v49
	v_mov_b32_e32 v0, v51
	v_add_co_u32 v45, vcc_lo, v53, v47
	v_add_co_ci_u32_e32 v46, vcc_lo, v54, v48, vcc_lo
	v_mad_u64_u32 v[47:48], null, s0, v55, 0
	v_mad_u64_u32 v[51:52], null, s1, v52, v[0:1]
	v_add_nc_u32_e32 v52, 44, v59
	global_store_dwordx4 v[45:46], v[25:28], off
	v_lshlrev_b64 v[25:26], 4, v[57:58]
	v_mov_b32_e32 v0, v48
	v_mad_u64_u32 v[27:28], null, s0, v52, 0
	v_lshlrev_b64 v[49:50], 4, v[50:51]
	v_add_co_u32 v25, vcc_lo, v53, v25
	v_mad_u64_u32 v[45:46], null, s1, v55, v[0:1]
	v_add_nc_u32_e32 v55, 55, v59
	v_mov_b32_e32 v0, v28
	v_add_co_ci_u32_e32 v26, vcc_lo, v54, v26, vcc_lo
	v_mov_b32_e32 v48, v45
	v_mad_u64_u32 v[45:46], null, s1, v52, v[0:1]
	v_mad_u64_u32 v[51:52], null, s0, v55, 0
	global_store_dwordx4 v[25:26], v[41:44], off
	v_lshlrev_b64 v[25:26], 4, v[47:48]
	v_add_co_u32 v41, vcc_lo, v53, v49
	v_mov_b32_e32 v28, v45
	v_add_co_ci_u32_e32 v42, vcc_lo, v54, v50, vcc_lo
	v_mov_b32_e32 v0, v52
	v_add_co_u32 v25, vcc_lo, v53, v25
	v_lshlrev_b64 v[27:28], 4, v[27:28]
	v_add_co_ci_u32_e32 v26, vcc_lo, v54, v26, vcc_lo
	v_add_nc_u32_e32 v46, 0x42, v59
	v_mad_u64_u32 v[43:44], null, s1, v55, v[0:1]
	v_add_co_u32 v27, vcc_lo, v53, v27
	v_mad_u64_u32 v[44:45], null, s0, v46, 0
	v_add_co_ci_u32_e32 v28, vcc_lo, v54, v28, vcc_lo
	global_store_dwordx4 v[41:42], v[37:40], off
	global_store_dwordx4 v[25:26], v[33:36], off
	v_add_nc_u32_e32 v33, 0x4d, v59
	v_mov_b32_e32 v52, v43
	global_store_dwordx4 v[27:28], v[29:32], off
	v_mov_b32_e32 v0, v45
	v_add_nc_u32_e32 v35, 0x58, v59
	v_mad_u64_u32 v[27:28], null, s0, v33, 0
	v_lshlrev_b64 v[25:26], 4, v[51:52]
	v_mad_u64_u32 v[29:30], null, s1, v46, v[0:1]
	v_add_nc_u32_e32 v36, 0x63, v59
	v_mad_u64_u32 v[30:31], null, s0, v35, 0
	v_mov_b32_e32 v0, v28
	v_add_co_u32 v25, vcc_lo, v53, v25
	v_add_co_ci_u32_e32 v26, vcc_lo, v54, v26, vcc_lo
	v_add_nc_u32_e32 v37, 0x6e, v59
	v_mad_u64_u32 v[32:33], null, s1, v33, v[0:1]
	v_mad_u64_u32 v[33:34], null, s0, v36, 0
	global_store_dwordx4 v[25:26], v[21:24], off
	v_mad_u64_u32 v[21:22], null, s0, v37, 0
	v_mov_b32_e32 v0, v31
	v_mov_b32_e32 v28, v32
	;; [unrolled: 1-line block ×4, first 2 shown]
	v_mad_u64_u32 v[31:32], null, s1, v35, v[0:1]
	v_mov_b32_e32 v0, v22
	v_mad_u64_u32 v[25:26], null, s1, v36, v[25:26]
	v_lshlrev_b64 v[26:27], 4, v[27:28]
	v_lshlrev_b64 v[23:24], 4, v[44:45]
	v_mad_u64_u32 v[28:29], null, s1, v37, v[0:1]
	v_lshlrev_b64 v[29:30], 4, v[30:31]
	v_mov_b32_e32 v34, v25
	v_add_co_u32 v23, vcc_lo, v53, v23
	v_add_co_ci_u32_e32 v24, vcc_lo, v54, v24, vcc_lo
	v_mov_b32_e32 v22, v28
	v_add_co_u32 v25, vcc_lo, v53, v26
	v_lshlrev_b64 v[31:32], 4, v[33:34]
	v_add_co_ci_u32_e32 v26, vcc_lo, v54, v27, vcc_lo
	v_add_co_u32 v27, vcc_lo, v53, v29
	v_lshlrev_b64 v[21:22], 4, v[21:22]
	v_add_co_ci_u32_e32 v28, vcc_lo, v54, v30, vcc_lo
	v_add_co_u32 v29, vcc_lo, v53, v31
	v_add_co_ci_u32_e32 v30, vcc_lo, v54, v32, vcc_lo
	v_add_co_u32 v21, vcc_lo, v53, v21
	v_add_co_ci_u32_e32 v22, vcc_lo, v54, v22, vcc_lo
	global_store_dwordx4 v[23:24], v[17:20], off
	global_store_dwordx4 v[25:26], v[13:16], off
	;; [unrolled: 1-line block ×5, first 2 shown]
.LBB0_18:
	s_endpgm
	.section	.rodata,"a",@progbits
	.p2align	6, 0x0
	.amdhsa_kernel fft_rtc_back_len121_factors_11_11_wgs_121_tpt_11_dp_ip_CI_sbcc_twdbase5_3step_dirReg
		.amdhsa_group_segment_fixed_size 0
		.amdhsa_private_segment_fixed_size 0
		.amdhsa_kernarg_size 96
		.amdhsa_user_sgpr_count 6
		.amdhsa_user_sgpr_private_segment_buffer 1
		.amdhsa_user_sgpr_dispatch_ptr 0
		.amdhsa_user_sgpr_queue_ptr 0
		.amdhsa_user_sgpr_kernarg_segment_ptr 1
		.amdhsa_user_sgpr_dispatch_id 0
		.amdhsa_user_sgpr_flat_scratch_init 0
		.amdhsa_user_sgpr_private_segment_size 0
		.amdhsa_wavefront_size32 1
		.amdhsa_uses_dynamic_stack 0
		.amdhsa_system_sgpr_private_segment_wavefront_offset 0
		.amdhsa_system_sgpr_workgroup_id_x 1
		.amdhsa_system_sgpr_workgroup_id_y 0
		.amdhsa_system_sgpr_workgroup_id_z 0
		.amdhsa_system_sgpr_workgroup_info 0
		.amdhsa_system_vgpr_workitem_id 0
		.amdhsa_next_free_vgpr 222
		.amdhsa_next_free_sgpr 44
		.amdhsa_reserve_vcc 1
		.amdhsa_reserve_flat_scratch 0
		.amdhsa_float_round_mode_32 0
		.amdhsa_float_round_mode_16_64 0
		.amdhsa_float_denorm_mode_32 3
		.amdhsa_float_denorm_mode_16_64 3
		.amdhsa_dx10_clamp 1
		.amdhsa_ieee_mode 1
		.amdhsa_fp16_overflow 0
		.amdhsa_workgroup_processor_mode 1
		.amdhsa_memory_ordered 1
		.amdhsa_forward_progress 0
		.amdhsa_shared_vgpr_count 0
		.amdhsa_exception_fp_ieee_invalid_op 0
		.amdhsa_exception_fp_denorm_src 0
		.amdhsa_exception_fp_ieee_div_zero 0
		.amdhsa_exception_fp_ieee_overflow 0
		.amdhsa_exception_fp_ieee_underflow 0
		.amdhsa_exception_fp_ieee_inexact 0
		.amdhsa_exception_int_div_zero 0
	.end_amdhsa_kernel
	.text
.Lfunc_end0:
	.size	fft_rtc_back_len121_factors_11_11_wgs_121_tpt_11_dp_ip_CI_sbcc_twdbase5_3step_dirReg, .Lfunc_end0-fft_rtc_back_len121_factors_11_11_wgs_121_tpt_11_dp_ip_CI_sbcc_twdbase5_3step_dirReg
                                        ; -- End function
	.section	.AMDGPU.csdata,"",@progbits
; Kernel info:
; codeLenInByte = 10560
; NumSgprs: 46
; NumVgprs: 222
; ScratchSize: 0
; MemoryBound: 1
; FloatMode: 240
; IeeeMode: 1
; LDSByteSize: 0 bytes/workgroup (compile time only)
; SGPRBlocks: 5
; VGPRBlocks: 27
; NumSGPRsForWavesPerEU: 46
; NumVGPRsForWavesPerEU: 222
; Occupancy: 4
; WaveLimiterHint : 1
; COMPUTE_PGM_RSRC2:SCRATCH_EN: 0
; COMPUTE_PGM_RSRC2:USER_SGPR: 6
; COMPUTE_PGM_RSRC2:TRAP_HANDLER: 0
; COMPUTE_PGM_RSRC2:TGID_X_EN: 1
; COMPUTE_PGM_RSRC2:TGID_Y_EN: 0
; COMPUTE_PGM_RSRC2:TGID_Z_EN: 0
; COMPUTE_PGM_RSRC2:TIDIG_COMP_CNT: 0
	.text
	.p2alignl 6, 3214868480
	.fill 48, 4, 3214868480
	.type	__hip_cuid_8d20370a5f54d151,@object ; @__hip_cuid_8d20370a5f54d151
	.section	.bss,"aw",@nobits
	.globl	__hip_cuid_8d20370a5f54d151
__hip_cuid_8d20370a5f54d151:
	.byte	0                               ; 0x0
	.size	__hip_cuid_8d20370a5f54d151, 1

	.ident	"AMD clang version 19.0.0git (https://github.com/RadeonOpenCompute/llvm-project roc-6.4.0 25133 c7fe45cf4b819c5991fe208aaa96edf142730f1d)"
	.section	".note.GNU-stack","",@progbits
	.addrsig
	.addrsig_sym __hip_cuid_8d20370a5f54d151
	.amdgpu_metadata
---
amdhsa.kernels:
  - .args:
      - .actual_access:  read_only
        .address_space:  global
        .offset:         0
        .size:           8
        .value_kind:     global_buffer
      - .address_space:  global
        .offset:         8
        .size:           8
        .value_kind:     global_buffer
      - .offset:         16
        .size:           8
        .value_kind:     by_value
      - .actual_access:  read_only
        .address_space:  global
        .offset:         24
        .size:           8
        .value_kind:     global_buffer
      - .actual_access:  read_only
        .address_space:  global
        .offset:         32
        .size:           8
        .value_kind:     global_buffer
      - .offset:         40
        .size:           8
        .value_kind:     by_value
      - .actual_access:  read_only
        .address_space:  global
        .offset:         48
        .size:           8
        .value_kind:     global_buffer
      - .actual_access:  read_only
        .address_space:  global
        .offset:         56
        .size:           8
        .value_kind:     global_buffer
      - .offset:         64
        .size:           4
        .value_kind:     by_value
      - .actual_access:  read_only
        .address_space:  global
        .offset:         72
        .size:           8
        .value_kind:     global_buffer
      - .actual_access:  read_only
        .address_space:  global
        .offset:         80
        .size:           8
        .value_kind:     global_buffer
      - .address_space:  global
        .offset:         88
        .size:           8
        .value_kind:     global_buffer
    .group_segment_fixed_size: 0
    .kernarg_segment_align: 8
    .kernarg_segment_size: 96
    .language:       OpenCL C
    .language_version:
      - 2
      - 0
    .max_flat_workgroup_size: 121
    .name:           fft_rtc_back_len121_factors_11_11_wgs_121_tpt_11_dp_ip_CI_sbcc_twdbase5_3step_dirReg
    .private_segment_fixed_size: 0
    .sgpr_count:     46
    .sgpr_spill_count: 0
    .symbol:         fft_rtc_back_len121_factors_11_11_wgs_121_tpt_11_dp_ip_CI_sbcc_twdbase5_3step_dirReg.kd
    .uniform_work_group_size: 1
    .uses_dynamic_stack: false
    .vgpr_count:     222
    .vgpr_spill_count: 0
    .wavefront_size: 32
    .workgroup_processor_mode: 1
amdhsa.target:   amdgcn-amd-amdhsa--gfx1030
amdhsa.version:
  - 1
  - 2
...

	.end_amdgpu_metadata
